;; amdgpu-corpus repo=ROCm/rocFFT kind=compiled arch=gfx1201 opt=O3
	.text
	.amdgcn_target "amdgcn-amd-amdhsa--gfx1201"
	.amdhsa_code_object_version 6
	.protected	fft_rtc_back_len546_factors_13_3_7_2_wgs_117_tpt_39_halfLds_dp_op_CI_CI_unitstride_sbrr_C2R_dirReg ; -- Begin function fft_rtc_back_len546_factors_13_3_7_2_wgs_117_tpt_39_halfLds_dp_op_CI_CI_unitstride_sbrr_C2R_dirReg
	.globl	fft_rtc_back_len546_factors_13_3_7_2_wgs_117_tpt_39_halfLds_dp_op_CI_CI_unitstride_sbrr_C2R_dirReg
	.p2align	8
	.type	fft_rtc_back_len546_factors_13_3_7_2_wgs_117_tpt_39_halfLds_dp_op_CI_CI_unitstride_sbrr_C2R_dirReg,@function
fft_rtc_back_len546_factors_13_3_7_2_wgs_117_tpt_39_halfLds_dp_op_CI_CI_unitstride_sbrr_C2R_dirReg: ; @fft_rtc_back_len546_factors_13_3_7_2_wgs_117_tpt_39_halfLds_dp_op_CI_CI_unitstride_sbrr_C2R_dirReg
; %bb.0:
	s_load_b128 s[8:11], s[0:1], 0x0
	v_mul_u32_u24_e32 v1, 0x691, v0
	s_clause 0x1
	s_load_b128 s[4:7], s[0:1], 0x58
	s_load_b128 s[12:15], s[0:1], 0x18
	v_mov_b32_e32 v5, 0
	v_lshrrev_b32_e32 v3, 16, v1
	v_mov_b32_e32 v1, 0
	v_mov_b32_e32 v2, 0
	s_delay_alu instid0(VALU_DEP_3) | instskip(NEXT) | instid1(VALU_DEP_2)
	v_mad_co_u64_u32 v[3:4], null, ttmp9, 3, v[3:4]
	v_dual_mov_b32 v4, v5 :: v_dual_mov_b32 v61, v2
	s_delay_alu instid0(VALU_DEP_1) | instskip(NEXT) | instid1(VALU_DEP_3)
	v_dual_mov_b32 v60, v1 :: v_dual_mov_b32 v65, v4
	v_mov_b32_e32 v64, v3
	s_wait_kmcnt 0x0
	v_cmp_lt_u64_e64 s2, s[10:11], 2
	s_delay_alu instid0(VALU_DEP_1)
	s_and_b32 vcc_lo, exec_lo, s2
	s_cbranch_vccnz .LBB0_8
; %bb.1:
	s_load_b64 s[2:3], s[0:1], 0x10
	v_dual_mov_b32 v1, 0 :: v_dual_mov_b32 v8, v4
	v_dual_mov_b32 v2, 0 :: v_dual_mov_b32 v7, v3
	s_add_nc_u64 s[16:17], s[14:15], 8
	s_add_nc_u64 s[18:19], s[12:13], 8
	s_mov_b64 s[20:21], 1
	s_delay_alu instid0(VALU_DEP_1)
	v_dual_mov_b32 v61, v2 :: v_dual_mov_b32 v60, v1
	s_wait_kmcnt 0x0
	s_add_nc_u64 s[22:23], s[2:3], 8
	s_mov_b32 s3, 0
.LBB0_2:                                ; =>This Inner Loop Header: Depth=1
	s_load_b64 s[24:25], s[22:23], 0x0
                                        ; implicit-def: $vgpr64_vgpr65
	s_mov_b32 s2, exec_lo
	s_wait_kmcnt 0x0
	v_or_b32_e32 v6, s25, v8
	s_delay_alu instid0(VALU_DEP_1)
	v_cmpx_ne_u64_e32 0, v[5:6]
	s_wait_alu 0xfffe
	s_xor_b32 s26, exec_lo, s2
	s_cbranch_execz .LBB0_4
; %bb.3:                                ;   in Loop: Header=BB0_2 Depth=1
	s_cvt_f32_u32 s2, s24
	s_cvt_f32_u32 s27, s25
	s_sub_nc_u64 s[30:31], 0, s[24:25]
	s_wait_alu 0xfffe
	s_delay_alu instid0(SALU_CYCLE_1) | instskip(SKIP_1) | instid1(SALU_CYCLE_2)
	s_fmamk_f32 s2, s27, 0x4f800000, s2
	s_wait_alu 0xfffe
	v_s_rcp_f32 s2, s2
	s_delay_alu instid0(TRANS32_DEP_1) | instskip(SKIP_1) | instid1(SALU_CYCLE_2)
	s_mul_f32 s2, s2, 0x5f7ffffc
	s_wait_alu 0xfffe
	s_mul_f32 s27, s2, 0x2f800000
	s_wait_alu 0xfffe
	s_delay_alu instid0(SALU_CYCLE_2) | instskip(SKIP_1) | instid1(SALU_CYCLE_2)
	s_trunc_f32 s27, s27
	s_wait_alu 0xfffe
	s_fmamk_f32 s2, s27, 0xcf800000, s2
	s_cvt_u32_f32 s29, s27
	s_wait_alu 0xfffe
	s_delay_alu instid0(SALU_CYCLE_1) | instskip(SKIP_1) | instid1(SALU_CYCLE_2)
	s_cvt_u32_f32 s28, s2
	s_wait_alu 0xfffe
	s_mul_u64 s[34:35], s[30:31], s[28:29]
	s_wait_alu 0xfffe
	s_mul_hi_u32 s37, s28, s35
	s_mul_i32 s36, s28, s35
	s_mul_hi_u32 s2, s28, s34
	s_mul_i32 s33, s29, s34
	s_wait_alu 0xfffe
	s_add_nc_u64 s[36:37], s[2:3], s[36:37]
	s_mul_hi_u32 s27, s29, s34
	s_mul_hi_u32 s38, s29, s35
	s_add_co_u32 s2, s36, s33
	s_wait_alu 0xfffe
	s_add_co_ci_u32 s2, s37, s27
	s_mul_i32 s34, s29, s35
	s_add_co_ci_u32 s35, s38, 0
	s_wait_alu 0xfffe
	s_add_nc_u64 s[34:35], s[2:3], s[34:35]
	s_wait_alu 0xfffe
	v_add_co_u32 v4, s2, s28, s34
	s_delay_alu instid0(VALU_DEP_1) | instskip(SKIP_1) | instid1(VALU_DEP_1)
	s_cmp_lg_u32 s2, 0
	s_add_co_ci_u32 s29, s29, s35
	v_readfirstlane_b32 s28, v4
	s_wait_alu 0xfffe
	s_delay_alu instid0(VALU_DEP_1)
	s_mul_u64 s[30:31], s[30:31], s[28:29]
	s_wait_alu 0xfffe
	s_mul_hi_u32 s35, s28, s31
	s_mul_i32 s34, s28, s31
	s_mul_hi_u32 s2, s28, s30
	s_mul_i32 s33, s29, s30
	s_wait_alu 0xfffe
	s_add_nc_u64 s[34:35], s[2:3], s[34:35]
	s_mul_hi_u32 s27, s29, s30
	s_mul_hi_u32 s28, s29, s31
	s_wait_alu 0xfffe
	s_add_co_u32 s2, s34, s33
	s_add_co_ci_u32 s2, s35, s27
	s_mul_i32 s30, s29, s31
	s_add_co_ci_u32 s31, s28, 0
	s_wait_alu 0xfffe
	s_add_nc_u64 s[30:31], s[2:3], s[30:31]
	s_wait_alu 0xfffe
	v_add_co_u32 v4, s2, v4, s30
	s_delay_alu instid0(VALU_DEP_1) | instskip(SKIP_1) | instid1(VALU_DEP_1)
	s_cmp_lg_u32 s2, 0
	s_add_co_ci_u32 s2, s29, s31
	v_mul_hi_u32 v6, v7, v4
	s_wait_alu 0xfffe
	v_mad_co_u64_u32 v[9:10], null, v7, s2, 0
	v_mad_co_u64_u32 v[11:12], null, v8, v4, 0
	;; [unrolled: 1-line block ×3, first 2 shown]
	s_delay_alu instid0(VALU_DEP_3) | instskip(SKIP_1) | instid1(VALU_DEP_4)
	v_add_co_u32 v4, vcc_lo, v6, v9
	s_wait_alu 0xfffd
	v_add_co_ci_u32_e32 v6, vcc_lo, 0, v10, vcc_lo
	s_delay_alu instid0(VALU_DEP_2) | instskip(SKIP_1) | instid1(VALU_DEP_2)
	v_add_co_u32 v4, vcc_lo, v4, v11
	s_wait_alu 0xfffd
	v_add_co_ci_u32_e32 v4, vcc_lo, v6, v12, vcc_lo
	s_wait_alu 0xfffd
	v_add_co_ci_u32_e32 v6, vcc_lo, 0, v14, vcc_lo
	s_delay_alu instid0(VALU_DEP_2) | instskip(SKIP_1) | instid1(VALU_DEP_2)
	v_add_co_u32 v4, vcc_lo, v4, v13
	s_wait_alu 0xfffd
	v_add_co_ci_u32_e32 v6, vcc_lo, 0, v6, vcc_lo
	s_delay_alu instid0(VALU_DEP_2) | instskip(SKIP_1) | instid1(VALU_DEP_3)
	v_mul_lo_u32 v11, s25, v4
	v_mad_co_u64_u32 v[9:10], null, s24, v4, 0
	v_mul_lo_u32 v12, s24, v6
	s_delay_alu instid0(VALU_DEP_2) | instskip(NEXT) | instid1(VALU_DEP_2)
	v_sub_co_u32 v9, vcc_lo, v7, v9
	v_add3_u32 v10, v10, v12, v11
	s_delay_alu instid0(VALU_DEP_1) | instskip(SKIP_1) | instid1(VALU_DEP_1)
	v_sub_nc_u32_e32 v11, v8, v10
	s_wait_alu 0xfffd
	v_subrev_co_ci_u32_e64 v11, s2, s25, v11, vcc_lo
	v_add_co_u32 v12, s2, v4, 2
	s_wait_alu 0xf1ff
	v_add_co_ci_u32_e64 v13, s2, 0, v6, s2
	v_sub_co_u32 v14, s2, v9, s24
	v_sub_co_ci_u32_e32 v10, vcc_lo, v8, v10, vcc_lo
	s_wait_alu 0xf1ff
	v_subrev_co_ci_u32_e64 v11, s2, 0, v11, s2
	s_delay_alu instid0(VALU_DEP_3) | instskip(NEXT) | instid1(VALU_DEP_3)
	v_cmp_le_u32_e32 vcc_lo, s24, v14
	v_cmp_eq_u32_e64 s2, s25, v10
	s_wait_alu 0xfffd
	v_cndmask_b32_e64 v14, 0, -1, vcc_lo
	v_cmp_le_u32_e32 vcc_lo, s25, v11
	s_wait_alu 0xfffd
	v_cndmask_b32_e64 v15, 0, -1, vcc_lo
	v_cmp_le_u32_e32 vcc_lo, s24, v9
	;; [unrolled: 3-line block ×3, first 2 shown]
	s_wait_alu 0xfffd
	v_cndmask_b32_e64 v16, 0, -1, vcc_lo
	v_cmp_eq_u32_e32 vcc_lo, s25, v11
	s_wait_alu 0xf1ff
	s_delay_alu instid0(VALU_DEP_2)
	v_cndmask_b32_e64 v9, v16, v9, s2
	s_wait_alu 0xfffd
	v_cndmask_b32_e32 v11, v15, v14, vcc_lo
	v_add_co_u32 v14, vcc_lo, v4, 1
	s_wait_alu 0xfffd
	v_add_co_ci_u32_e32 v15, vcc_lo, 0, v6, vcc_lo
	s_delay_alu instid0(VALU_DEP_3) | instskip(SKIP_1) | instid1(VALU_DEP_2)
	v_cmp_ne_u32_e32 vcc_lo, 0, v11
	s_wait_alu 0xfffd
	v_dual_cndmask_b32 v10, v15, v13 :: v_dual_cndmask_b32 v11, v14, v12
	v_cmp_ne_u32_e32 vcc_lo, 0, v9
	s_wait_alu 0xfffd
	s_delay_alu instid0(VALU_DEP_2)
	v_dual_cndmask_b32 v65, v6, v10 :: v_dual_cndmask_b32 v64, v4, v11
.LBB0_4:                                ;   in Loop: Header=BB0_2 Depth=1
	s_wait_alu 0xfffe
	s_and_not1_saveexec_b32 s2, s26
	s_cbranch_execz .LBB0_6
; %bb.5:                                ;   in Loop: Header=BB0_2 Depth=1
	v_cvt_f32_u32_e32 v4, s24
	s_sub_co_i32 s26, 0, s24
	v_mov_b32_e32 v65, v5
	s_delay_alu instid0(VALU_DEP_2) | instskip(NEXT) | instid1(TRANS32_DEP_1)
	v_rcp_iflag_f32_e32 v4, v4
	v_mul_f32_e32 v4, 0x4f7ffffe, v4
	s_delay_alu instid0(VALU_DEP_1) | instskip(SKIP_1) | instid1(VALU_DEP_1)
	v_cvt_u32_f32_e32 v4, v4
	s_wait_alu 0xfffe
	v_mul_lo_u32 v6, s26, v4
	s_delay_alu instid0(VALU_DEP_1) | instskip(NEXT) | instid1(VALU_DEP_1)
	v_mul_hi_u32 v6, v4, v6
	v_add_nc_u32_e32 v4, v4, v6
	s_delay_alu instid0(VALU_DEP_1) | instskip(NEXT) | instid1(VALU_DEP_1)
	v_mul_hi_u32 v4, v7, v4
	v_mul_lo_u32 v6, v4, s24
	s_delay_alu instid0(VALU_DEP_1) | instskip(NEXT) | instid1(VALU_DEP_1)
	v_sub_nc_u32_e32 v6, v7, v6
	v_subrev_nc_u32_e32 v10, s24, v6
	v_cmp_le_u32_e32 vcc_lo, s24, v6
	s_wait_alu 0xfffd
	s_delay_alu instid0(VALU_DEP_2) | instskip(NEXT) | instid1(VALU_DEP_1)
	v_dual_cndmask_b32 v6, v6, v10 :: v_dual_add_nc_u32 v9, 1, v4
	v_cndmask_b32_e32 v4, v4, v9, vcc_lo
	s_delay_alu instid0(VALU_DEP_2) | instskip(NEXT) | instid1(VALU_DEP_2)
	v_cmp_le_u32_e32 vcc_lo, s24, v6
	v_add_nc_u32_e32 v9, 1, v4
	s_wait_alu 0xfffd
	s_delay_alu instid0(VALU_DEP_1)
	v_cndmask_b32_e32 v64, v4, v9, vcc_lo
.LBB0_6:                                ;   in Loop: Header=BB0_2 Depth=1
	s_wait_alu 0xfffe
	s_or_b32 exec_lo, exec_lo, s2
	v_mul_lo_u32 v4, v65, s24
	s_delay_alu instid0(VALU_DEP_2)
	v_mul_lo_u32 v6, v64, s25
	s_load_b64 s[26:27], s[18:19], 0x0
	v_mad_co_u64_u32 v[9:10], null, v64, s24, 0
	s_load_b64 s[24:25], s[16:17], 0x0
	s_add_nc_u64 s[20:21], s[20:21], 1
	s_add_nc_u64 s[16:17], s[16:17], 8
	s_wait_alu 0xfffe
	v_cmp_ge_u64_e64 s2, s[20:21], s[10:11]
	s_add_nc_u64 s[18:19], s[18:19], 8
	s_add_nc_u64 s[22:23], s[22:23], 8
	v_add3_u32 v4, v10, v6, v4
	v_sub_co_u32 v6, vcc_lo, v7, v9
	s_wait_alu 0xfffd
	s_delay_alu instid0(VALU_DEP_2) | instskip(SKIP_2) | instid1(VALU_DEP_1)
	v_sub_co_ci_u32_e32 v4, vcc_lo, v8, v4, vcc_lo
	s_and_b32 vcc_lo, exec_lo, s2
	s_wait_kmcnt 0x0
	v_mul_lo_u32 v7, s26, v4
	v_mul_lo_u32 v8, s27, v6
	v_mad_co_u64_u32 v[1:2], null, s26, v6, v[1:2]
	v_mul_lo_u32 v4, s24, v4
	v_mul_lo_u32 v9, s25, v6
	v_mad_co_u64_u32 v[60:61], null, s24, v6, v[60:61]
	s_delay_alu instid0(VALU_DEP_4) | instskip(NEXT) | instid1(VALU_DEP_2)
	v_add3_u32 v2, v8, v2, v7
	v_add3_u32 v61, v9, v61, v4
	s_wait_alu 0xfffe
	s_cbranch_vccnz .LBB0_8
; %bb.7:                                ;   in Loop: Header=BB0_2 Depth=1
	v_dual_mov_b32 v7, v64 :: v_dual_mov_b32 v8, v65
	s_branch .LBB0_2
.LBB0_8:
	s_load_b64 s[0:1], s[0:1], 0x28
	v_mul_hi_u32 v4, 0xaaaaaaab, v3
	v_mul_hi_u32 v6, 0x6906907, v0
	s_lshl_b64 s[10:11], s[10:11], 3
                                        ; implicit-def: $vgpr239
	s_wait_alu 0xfffe
	s_add_nc_u64 s[2:3], s[14:15], s[10:11]
	s_delay_alu instid0(VALU_DEP_2) | instskip(NEXT) | instid1(VALU_DEP_1)
	v_lshrrev_b32_e32 v4, 1, v4
	v_lshl_add_u32 v4, v4, 1, v4
	s_delay_alu instid0(VALU_DEP_1) | instskip(SKIP_3) | instid1(VALU_DEP_1)
	v_sub_nc_u32_e32 v3, v3, v4
	s_wait_kmcnt 0x0
	v_cmp_gt_u64_e32 vcc_lo, s[0:1], v[64:65]
	v_cmp_le_u64_e64 s0, s[0:1], v[64:65]
                                        ; implicit-def: $vgpr4_vgpr5
	s_and_saveexec_b32 s1, s0
	s_wait_alu 0xfffe
	s_xor_b32 s0, exec_lo, s1
; %bb.9:
	v_mul_u32_u24_e32 v1, 39, v6
	v_mov_b32_e32 v240, 0
                                        ; implicit-def: $vgpr6
	s_delay_alu instid0(VALU_DEP_2) | instskip(NEXT) | instid1(VALU_DEP_1)
	v_sub_nc_u32_e32 v239, v0, v1
                                        ; implicit-def: $vgpr0
                                        ; implicit-def: $vgpr1_vgpr2
	v_dual_mov_b32 v4, v239 :: v_dual_mov_b32 v5, v240
; %bb.10:
	s_wait_alu 0xfffe
	s_or_saveexec_b32 s1, s0
	s_load_b64 s[2:3], s[2:3], 0x0
	v_mul_u32_u24_e32 v58, 0x223, v3
	s_delay_alu instid0(VALU_DEP_1)
	v_lshlrev_b32_e32 v122, 4, v58
	s_xor_b32 exec_lo, exec_lo, s1
	s_cbranch_execz .LBB0_14
; %bb.11:
	s_add_nc_u64 s[10:11], s[12:13], s[10:11]
	v_lshlrev_b64_e32 v[1:2], 4, v[1:2]
	s_load_b64 s[10:11], s[10:11], 0x0
	v_mov_b32_e32 v240, 0
	s_wait_kmcnt 0x0
	v_mul_lo_u32 v5, s11, v64
	v_mul_lo_u32 v7, s10, v65
	v_mad_co_u64_u32 v[3:4], null, s10, v64, 0
	s_delay_alu instid0(VALU_DEP_1) | instskip(SKIP_1) | instid1(VALU_DEP_2)
	v_add3_u32 v4, v4, v7, v5
	v_mul_u32_u24_e32 v5, 39, v6
	v_lshlrev_b64_e32 v[3:4], 4, v[3:4]
	s_delay_alu instid0(VALU_DEP_2) | instskip(NEXT) | instid1(VALU_DEP_2)
	v_sub_nc_u32_e32 v239, v0, v5
	v_add_co_u32 v0, s0, s4, v3
	s_wait_alu 0xf1ff
	s_delay_alu instid0(VALU_DEP_3) | instskip(NEXT) | instid1(VALU_DEP_3)
	v_add_co_ci_u32_e64 v3, s0, s5, v4, s0
	v_lshlrev_b32_e32 v4, 4, v239
	s_delay_alu instid0(VALU_DEP_3) | instskip(SKIP_1) | instid1(VALU_DEP_3)
	v_add_co_u32 v0, s0, v0, v1
	s_wait_alu 0xf1ff
	v_add_co_ci_u32_e64 v1, s0, v3, v2, s0
	s_mov_b32 s4, exec_lo
	s_delay_alu instid0(VALU_DEP_2) | instskip(SKIP_1) | instid1(VALU_DEP_2)
	v_add_co_u32 v2, s0, v0, v4
	s_wait_alu 0xf1ff
	v_add_co_ci_u32_e64 v3, s0, 0, v1, s0
	s_clause 0xd
	global_load_b128 v[6:9], v[2:3], off
	global_load_b128 v[10:13], v[2:3], off offset:624
	global_load_b128 v[14:17], v[2:3], off offset:1248
	;; [unrolled: 1-line block ×13, first 2 shown]
	v_add3_u32 v2, 0, v122, v4
	v_dual_mov_b32 v4, v239 :: v_dual_mov_b32 v5, v240
	s_wait_loadcnt 0xd
	ds_store_b128 v2, v[6:9]
	s_wait_loadcnt 0xc
	ds_store_b128 v2, v[10:13] offset:624
	s_wait_loadcnt 0xb
	ds_store_b128 v2, v[14:17] offset:1248
	s_wait_loadcnt 0xa
	ds_store_b128 v2, v[18:21] offset:1872
	s_wait_loadcnt 0x9
	ds_store_b128 v2, v[22:25] offset:2496
	s_wait_loadcnt 0x8
	ds_store_b128 v2, v[26:29] offset:3120
	s_wait_loadcnt 0x7
	ds_store_b128 v2, v[30:33] offset:3744
	s_wait_loadcnt 0x6
	ds_store_b128 v2, v[34:37] offset:4368
	s_wait_loadcnt 0x5
	ds_store_b128 v2, v[38:41] offset:4992
	s_wait_loadcnt 0x4
	ds_store_b128 v2, v[42:45] offset:5616
	s_wait_loadcnt 0x3
	ds_store_b128 v2, v[46:49] offset:6240
	s_wait_loadcnt 0x2
	ds_store_b128 v2, v[50:53] offset:6864
	s_wait_loadcnt 0x1
	ds_store_b128 v2, v[54:57] offset:7488
	s_wait_loadcnt 0x0
	ds_store_b128 v2, v[66:69] offset:8112
	v_cmpx_eq_u32_e32 38, v239
	s_cbranch_execz .LBB0_13
; %bb.12:
	global_load_b128 v[6:9], v[0:1], off offset:8736
	v_dual_mov_b32 v4, 38 :: v_dual_mov_b32 v239, 38
	v_mov_b32_e32 v5, 0
	s_wait_loadcnt 0x0
	ds_store_b128 v2, v[6:9] offset:8128
.LBB0_13:
	s_wait_alu 0xfffe
	s_or_b32 exec_lo, exec_lo, s4
.LBB0_14:
	s_delay_alu instid0(SALU_CYCLE_1)
	s_or_b32 exec_lo, exec_lo, s1
	v_lshl_add_u32 v1, v58, 4, 0
	v_lshlrev_b32_e32 v0, 4, v239
	scratch_store_b32 off, v58, off offset:88 ; 4-byte Folded Spill
	global_wb scope:SCOPE_SE
	s_wait_storecnt_dscnt 0x0
	v_lshlrev_b64_e32 v[4:5], 4, v[4:5]
	scratch_store_b32 off, v1, off offset:92 ; 4-byte Folded Spill
	v_add_nc_u32_e32 v255, v1, v0
	v_sub_nc_u32_e32 v6, v1, v0
	s_wait_storecnt 0x0
	s_wait_kmcnt 0x0
	s_barrier_signal -1
	s_barrier_wait -1
	global_inv scope:SCOPE_SE
	ds_load_b64 v[2:3], v255
	ds_load_b64 v[7:8], v6 offset:8736
	s_mov_b32 s1, exec_lo
	scratch_store_b64 off, v[4:5], off      ; 8-byte Folded Spill
	s_wait_dscnt 0x0
	v_add_f64_e32 v[0:1], v[2:3], v[7:8]
	v_add_f64_e64 v[2:3], v[2:3], -v[7:8]
	v_cmpx_ne_u32_e32 0, v239
	s_wait_alu 0xfffe
	s_xor_b32 s1, exec_lo, s1
	s_cbranch_execz .LBB0_16
; %bb.15:
	scratch_load_b64 v[4:5], off, off       ; 8-byte Folded Reload
	s_wait_loadcnt 0x0
	v_add_co_u32 v4, s0, s8, v4
	s_wait_alu 0xf1ff
	v_add_co_ci_u32_e64 v5, s0, s9, v5, s0
	global_load_b128 v[7:10], v[4:5], off offset:8528
	ds_load_b64 v[4:5], v6 offset:8744
	ds_load_b64 v[11:12], v255 offset:8
	s_wait_dscnt 0x0
	v_add_f64_e32 v[13:14], v[4:5], v[11:12]
	v_add_f64_e64 v[4:5], v[11:12], -v[4:5]
	s_wait_loadcnt 0x0
	v_fma_f64 v[11:12], v[2:3], v[9:10], v[0:1]
	s_delay_alu instid0(VALU_DEP_2) | instskip(SKIP_2) | instid1(VALU_DEP_4)
	v_fma_f64 v[15:16], v[13:14], v[9:10], v[4:5]
	v_fma_f64 v[0:1], -v[2:3], v[9:10], v[0:1]
	v_fma_f64 v[4:5], v[13:14], v[9:10], -v[4:5]
	v_fma_f64 v[9:10], -v[13:14], v[7:8], v[11:12]
	s_delay_alu instid0(VALU_DEP_4) | instskip(NEXT) | instid1(VALU_DEP_4)
	v_fma_f64 v[11:12], v[2:3], v[7:8], v[15:16]
	v_fma_f64 v[0:1], v[13:14], v[7:8], v[0:1]
	s_delay_alu instid0(VALU_DEP_4)
	v_fma_f64 v[2:3], v[2:3], v[7:8], v[4:5]
	ds_store_b128 v255, v[9:12]
	ds_store_b128 v6, v[0:3] offset:8736
                                        ; implicit-def: $vgpr0_vgpr1
.LBB0_16:
	s_wait_alu 0xfffe
	s_and_not1_saveexec_b32 s0, s1
	s_cbranch_execz .LBB0_18
; %bb.17:
	scratch_load_b32 v4, off, off offset:92 ; 4-byte Folded Reload
	ds_store_b128 v255, v[0:3]
	s_wait_loadcnt 0x0
	ds_load_b128 v[0:3], v4 offset:4368
	s_wait_dscnt 0x0
	v_add_f64_e32 v[0:1], v[0:1], v[0:1]
	v_mul_f64_e32 v[2:3], -2.0, v[2:3]
	ds_store_b128 v4, v[0:3] offset:4368
.LBB0_18:
	s_wait_alu 0xfffe
	s_or_b32 exec_lo, exec_lo, s0
	v_mov_b32_e32 v240, 0
	s_add_nc_u64 s[0:1], s[8:9], 0x2150
	s_mov_b32 s26, 0x42a4c3d2
	s_mov_b32 s27, 0xbfea55e2
	;; [unrolled: 1-line block ×3, first 2 shown]
	v_lshlrev_b64_e32 v[0:1], 4, v[239:240]
	s_mov_b32 s13, 0x3fe22d96
	s_mov_b32 s25, 0x3fea55e2
	s_wait_alu 0xfffe
	s_mov_b32 s24, s26
	s_mov_b32 s28, 0x66966769
	;; [unrolled: 1-line block ×3, first 2 shown]
	v_add_co_u32 v23, s0, s0, v0
	s_wait_alu 0xf1ff
	v_add_co_ci_u32_e64 v24, s0, s1, v1, s0
	scratch_store_b64 off, v[0:1], off offset:96 ; 8-byte Folded Spill
	s_mov_b32 s16, 0xebaa3ed8
	s_mov_b32 s17, 0x3fbedb7d
	s_clause 0x1
	global_load_b128 v[0:3], v[23:24], off offset:624
	global_load_b128 v[7:10], v[23:24], off offset:1248
	ds_load_b128 v[11:14], v255 offset:624
	ds_load_b128 v[15:18], v6 offset:8112
	global_load_b128 v[19:22], v[23:24], off offset:1872
	s_mov_b32 s31, 0x3fefc445
	s_wait_alu 0xfffe
	s_mov_b32 s30, s28
	s_mov_b32 s36, 0x2ef20147
	;; [unrolled: 1-line block ×17, first 2 shown]
	s_wait_dscnt 0x0
	v_add_f64_e32 v[4:5], v[11:12], v[15:16]
	v_add_f64_e32 v[25:26], v[17:18], v[13:14]
	v_add_f64_e64 v[15:16], v[11:12], -v[15:16]
	v_add_f64_e64 v[11:12], v[13:14], -v[17:18]
	s_mov_b32 s4, 0xe00740e9
	s_mov_b32 s20, 0x93053d00
	;; [unrolled: 1-line block ×6, first 2 shown]
	s_wait_alu 0xfffe
	s_mov_b32 s22, s0
	s_mov_b32 s38, s40
	s_wait_loadcnt 0x2
	s_delay_alu instid0(VALU_DEP_2) | instskip(NEXT) | instid1(VALU_DEP_2)
	v_fma_f64 v[13:14], v[15:16], v[2:3], v[4:5]
	v_fma_f64 v[17:18], v[25:26], v[2:3], v[11:12]
	v_fma_f64 v[27:28], -v[15:16], v[2:3], v[4:5]
	v_fma_f64 v[29:30], v[25:26], v[2:3], -v[11:12]
	s_delay_alu instid0(VALU_DEP_4) | instskip(NEXT) | instid1(VALU_DEP_4)
	v_fma_f64 v[2:3], -v[25:26], v[0:1], v[13:14]
	v_fma_f64 v[4:5], v[15:16], v[0:1], v[17:18]
	s_delay_alu instid0(VALU_DEP_4) | instskip(NEXT) | instid1(VALU_DEP_4)
	v_fma_f64 v[11:12], v[25:26], v[0:1], v[27:28]
	v_fma_f64 v[13:14], v[15:16], v[0:1], v[29:30]
	ds_store_b128 v255, v[2:5] offset:624
	ds_store_b128 v6, v[11:14] offset:8112
	ds_load_b128 v[0:3], v255 offset:1248
	ds_load_b128 v[11:14], v6 offset:7488
	global_load_b128 v[15:18], v[23:24], off offset:2496
	s_wait_dscnt 0x0
	v_add_f64_e32 v[4:5], v[0:1], v[11:12]
	v_add_f64_e32 v[25:26], v[13:14], v[2:3]
	v_add_f64_e64 v[11:12], v[0:1], -v[11:12]
	v_add_f64_e64 v[0:1], v[2:3], -v[13:14]
	s_wait_loadcnt 0x2
	s_delay_alu instid0(VALU_DEP_2) | instskip(NEXT) | instid1(VALU_DEP_2)
	v_fma_f64 v[2:3], v[11:12], v[9:10], v[4:5]
	v_fma_f64 v[13:14], v[25:26], v[9:10], v[0:1]
	v_fma_f64 v[4:5], -v[11:12], v[9:10], v[4:5]
	v_fma_f64 v[27:28], v[25:26], v[9:10], -v[0:1]
	s_delay_alu instid0(VALU_DEP_4) | instskip(NEXT) | instid1(VALU_DEP_4)
	v_fma_f64 v[0:1], -v[25:26], v[7:8], v[2:3]
	v_fma_f64 v[2:3], v[11:12], v[7:8], v[13:14]
	s_delay_alu instid0(VALU_DEP_4) | instskip(NEXT) | instid1(VALU_DEP_4)
	v_fma_f64 v[9:10], v[25:26], v[7:8], v[4:5]
	v_fma_f64 v[11:12], v[11:12], v[7:8], v[27:28]
	ds_store_b128 v255, v[0:3] offset:1248
	ds_store_b128 v6, v[9:12] offset:7488
	ds_load_b128 v[0:3], v255 offset:1872
	ds_load_b128 v[7:10], v6 offset:6864
	global_load_b128 v[11:14], v[23:24], off offset:3120
	s_wait_dscnt 0x0
	v_add_f64_e32 v[4:5], v[0:1], v[7:8]
	v_add_f64_e32 v[25:26], v[9:10], v[2:3]
	v_add_f64_e64 v[27:28], v[0:1], -v[7:8]
	v_add_f64_e64 v[0:1], v[2:3], -v[9:10]
	;; [unrolled: 22-line block ×3, first 2 shown]
	s_wait_loadcnt 0x2
	s_delay_alu instid0(VALU_DEP_2) | instskip(NEXT) | instid1(VALU_DEP_2)
	v_fma_f64 v[2:3], v[25:26], v[17:18], v[4:5]
	v_fma_f64 v[7:8], v[23:24], v[17:18], v[0:1]
	v_fma_f64 v[4:5], -v[25:26], v[17:18], v[4:5]
	v_fma_f64 v[9:10], v[23:24], v[17:18], -v[0:1]
	s_delay_alu instid0(VALU_DEP_4) | instskip(NEXT) | instid1(VALU_DEP_4)
	v_fma_f64 v[0:1], -v[23:24], v[15:16], v[2:3]
	v_fma_f64 v[2:3], v[25:26], v[15:16], v[7:8]
	s_delay_alu instid0(VALU_DEP_4) | instskip(NEXT) | instid1(VALU_DEP_4)
	v_fma_f64 v[7:8], v[23:24], v[15:16], v[4:5]
	v_fma_f64 v[9:10], v[25:26], v[15:16], v[9:10]
	ds_store_b128 v255, v[0:3] offset:2496
	ds_store_b128 v6, v[7:10] offset:6240
	ds_load_b128 v[0:3], v255 offset:3120
	ds_load_b128 v[7:10], v6 offset:5616
	s_wait_dscnt 0x0
	v_add_f64_e32 v[4:5], v[0:1], v[7:8]
	v_add_f64_e32 v[15:16], v[9:10], v[2:3]
	v_add_f64_e64 v[17:18], v[0:1], -v[7:8]
	v_add_f64_e64 v[0:1], v[2:3], -v[9:10]
	s_wait_loadcnt 0x1
	s_delay_alu instid0(VALU_DEP_2) | instskip(NEXT) | instid1(VALU_DEP_2)
	v_fma_f64 v[2:3], v[17:18], v[13:14], v[4:5]
	v_fma_f64 v[7:8], v[15:16], v[13:14], v[0:1]
	v_fma_f64 v[4:5], -v[17:18], v[13:14], v[4:5]
	v_fma_f64 v[9:10], v[15:16], v[13:14], -v[0:1]
	s_delay_alu instid0(VALU_DEP_4) | instskip(NEXT) | instid1(VALU_DEP_4)
	v_fma_f64 v[0:1], -v[15:16], v[11:12], v[2:3]
	v_fma_f64 v[2:3], v[17:18], v[11:12], v[7:8]
	s_delay_alu instid0(VALU_DEP_4) | instskip(NEXT) | instid1(VALU_DEP_4)
	v_fma_f64 v[7:8], v[15:16], v[11:12], v[4:5]
	v_fma_f64 v[9:10], v[17:18], v[11:12], v[9:10]
	ds_store_b128 v255, v[0:3] offset:3120
	ds_store_b128 v6, v[7:10] offset:5616
	ds_load_b128 v[0:3], v255 offset:3744
	ds_load_b128 v[7:10], v6 offset:4992
	s_wait_dscnt 0x0
	v_add_f64_e32 v[4:5], v[0:1], v[7:8]
	v_add_f64_e32 v[11:12], v[9:10], v[2:3]
	v_add_f64_e64 v[13:14], v[0:1], -v[7:8]
	v_add_f64_e64 v[0:1], v[2:3], -v[9:10]
	s_wait_loadcnt 0x0
	s_delay_alu instid0(VALU_DEP_2) | instskip(NEXT) | instid1(VALU_DEP_2)
	v_fma_f64 v[2:3], v[13:14], v[21:22], v[4:5]
	v_fma_f64 v[7:8], v[11:12], v[21:22], v[0:1]
	v_fma_f64 v[4:5], -v[13:14], v[21:22], v[4:5]
	v_fma_f64 v[9:10], v[11:12], v[21:22], -v[0:1]
	s_delay_alu instid0(VALU_DEP_4) | instskip(NEXT) | instid1(VALU_DEP_4)
	v_fma_f64 v[0:1], -v[11:12], v[19:20], v[2:3]
	v_fma_f64 v[2:3], v[13:14], v[19:20], v[7:8]
	s_delay_alu instid0(VALU_DEP_4) | instskip(NEXT) | instid1(VALU_DEP_4)
	v_fma_f64 v[7:8], v[11:12], v[19:20], v[4:5]
	v_fma_f64 v[9:10], v[13:14], v[19:20], v[9:10]
	v_lshl_add_u32 v4, v239, 4, 0
	ds_store_b128 v255, v[0:3] offset:3744
	ds_store_b128 v6, v[7:10] offset:4992
	v_add_nc_u32_e32 v240, v4, v122
	global_wb scope:SCOPE_SE
	s_wait_storecnt_dscnt 0x0
	s_barrier_signal -1
	s_barrier_wait -1
	global_inv scope:SCOPE_SE
	global_wb scope:SCOPE_SE
	s_barrier_signal -1
	s_barrier_wait -1
	global_inv scope:SCOPE_SE
	ds_load_b128 v[8:11], v240 offset:672
	ds_load_b128 v[4:7], v255
	ds_load_b128 v[0:3], v240 offset:624
	ds_load_b128 v[12:15], v240 offset:1296
	s_wait_dscnt 0x2
	v_add_f64_e32 v[16:17], v[4:5], v[8:9]
	s_wait_dscnt 0x1
	scratch_store_b128 off, v[0:3], off offset:8 ; 16-byte Folded Spill
	s_wait_dscnt 0x0
	v_add_f64_e32 v[20:21], v[0:1], v[12:13]
	v_add_f64_e32 v[22:23], v[2:3], v[14:15]
	ds_load_b128 v[32:35], v240 offset:1344
	ds_load_b128 v[84:87], v240 offset:1968
	;; [unrolled: 1-line block ×12, first 2 shown]
	v_add_f64_e32 v[18:19], v[6:7], v[10:11]
	s_wait_dscnt 0x1
	v_add_f64_e32 v[100:101], v[44:45], v[106:107]
	s_wait_dscnt 0x0
	scratch_store_b128 off, v[0:3], off offset:104 ; 16-byte Folded Spill
	ds_load_b128 v[110:113], v240 offset:4704
	ds_load_b128 v[114:117], v240 offset:5328
	;; [unrolled: 1-line block ×3, first 2 shown]
	v_add_f64_e32 v[169:170], v[8:9], v[0:1]
	v_add_f64_e64 v[8:9], v[8:9], -v[0:1]
	ds_load_b128 v[129:132], v240 offset:6048
	ds_load_b128 v[133:136], v240 offset:6672
	;; [unrolled: 1-line block ×7, first 2 shown]
	v_add_f64_e64 v[118:119], v[10:11], -v[2:3]
	v_add_f64_e32 v[145:146], v[10:11], v[2:3]
	v_add_f64_e32 v[16:17], v[16:17], v[32:33]
	;; [unrolled: 1-line block ×4, first 2 shown]
	v_add_f64_e64 v[96:97], v[44:45], -v[106:107]
	v_add_f64_e32 v[98:99], v[46:47], v[108:109]
	v_add_f64_e64 v[102:103], v[46:47], -v[108:109]
	v_add_f64_e32 v[18:19], v[18:19], v[34:35]
	s_wait_dscnt 0x8
	v_add_f64_e32 v[0:1], v[78:79], v[114:115]
	v_add_f64_e32 v[92:93], v[70:71], v[110:111]
	v_add_f64_e64 v[10:11], v[70:71], -v[110:111]
	v_add_f64_e32 v[90:91], v[72:73], v[112:113]
	s_wait_dscnt 0x2
	v_add_f64_e64 v[167:168], v[34:35], -v[30:31]
	v_add_f64_e32 v[161:162], v[32:33], v[28:29]
	v_add_f64_e32 v[163:164], v[34:35], v[30:31]
	v_add_f64_e64 v[94:95], v[72:73], -v[112:113]
	v_add_f64_e64 v[165:166], v[32:33], -v[28:29]
	;; [unrolled: 1-line block ×3, first 2 shown]
	v_add_f64_e32 v[153:154], v[36:37], v[137:138]
	v_add_f64_e32 v[155:156], v[38:39], v[139:140]
	v_add_f64_e64 v[151:152], v[42:43], -v[131:132]
	v_add_f64_e64 v[157:158], v[36:37], -v[137:138]
	v_add_f64_e32 v[147:148], v[40:41], v[129:130]
	v_add_f64_e32 v[149:150], v[42:43], v[131:132]
	v_add_f64_e64 v[104:105], v[40:41], -v[129:130]
	v_mul_f64_e32 v[175:176], s[26:27], v[118:119]
	v_mul_f64_e32 v[177:178], s[12:13], v[145:146]
	;; [unrolled: 1-line block ×6, first 2 shown]
	v_add_f64_e32 v[16:17], v[16:17], v[36:37]
	v_mul_f64_e32 v[187:188], s[18:19], v[118:119]
	v_mul_f64_e32 v[189:190], s[10:11], v[145:146]
	v_add_f64_e32 v[20:21], v[20:21], v[50:51]
	v_add_f64_e32 v[22:23], v[22:23], v[52:53]
	;; [unrolled: 1-line block ×3, first 2 shown]
	scratch_store_b64 off, v[0:1], off offset:144 ; 8-byte Folded Spill
	v_add_f64_e32 v[0:1], v[80:81], v[116:117]
	v_mul_f64_e32 v[195:196], s[30:31], v[167:168]
	v_mul_f64_e32 v[2:3], s[20:21], v[163:164]
	;; [unrolled: 1-line block ×12, first 2 shown]
	v_fma_f64 v[201:202], v[169:170], s[12:13], v[175:176]
	v_fma_f64 v[175:176], v[169:170], s[12:13], -v[175:176]
	v_fma_f64 v[203:204], v[8:9], s[24:25], v[177:178]
	v_fma_f64 v[177:178], v[8:9], s[26:27], v[177:178]
	;; [unrolled: 1-line block ×4, first 2 shown]
	v_fma_f64 v[179:180], v[169:170], s[16:17], -v[179:180]
	v_fma_f64 v[181:182], v[8:9], s[28:29], v[181:182]
	v_fma_f64 v[209:210], v[169:170], s[14:15], v[183:184]
	;; [unrolled: 1-line block ×3, first 2 shown]
	v_fma_f64 v[183:184], v[169:170], s[14:15], -v[183:184]
	v_fma_f64 v[185:186], v[8:9], s[36:37], v[185:186]
	v_add_f64_e32 v[18:19], v[18:19], v[42:43]
	v_add_f64_e32 v[16:17], v[16:17], v[40:41]
	scratch_store_b64 off, v[0:1], off offset:176 ; 8-byte Folded Spill
	v_add_f64_e64 v[0:1], v[78:79], -v[114:115]
	v_fma_f64 v[213:214], v[169:170], s[10:11], v[187:188]
	v_fma_f64 v[215:216], v[8:9], s[34:35], v[189:190]
	v_fma_f64 v[187:188], v[169:170], s[10:11], -v[187:188]
	v_fma_f64 v[189:190], v[8:9], s[18:19], v[189:190]
	v_add_f64_e32 v[20:21], v[20:21], v[74:75]
	v_add_f64_e32 v[22:23], v[22:23], v[76:77]
	v_mul_f64_e32 v[40:41], s[22:23], v[151:152]
	v_mul_f64_e32 v[42:43], s[28:29], v[151:152]
	v_fma_f64 v[231:232], v[157:158], s[38:39], v[241:242]
	v_fma_f64 v[241:242], v[157:158], s[40:41], v[241:242]
	;; [unrolled: 1-line block ×4, first 2 shown]
	v_add_f64_e32 v[237:238], v[4:5], v[201:202]
	v_add_f64_e32 v[251:252], v[6:7], v[203:204]
	;; [unrolled: 1-line block ×4, first 2 shown]
	v_mul_f64_e32 v[16:17], s[0:1], v[118:119]
	scratch_store_b64 off, v[0:1], off offset:152 ; 8-byte Folded Spill
	v_add_f64_e64 v[0:1], v[80:81], -v[116:117]
	v_mul_f64_e32 v[118:119], s[40:41], v[118:119]
	v_mul_f64_e32 v[18:19], s[4:5], v[145:146]
	;; [unrolled: 1-line block ×3, first 2 shown]
	v_add_f64_e32 v[20:21], v[20:21], v[54:55]
	v_add_f64_e32 v[22:23], v[22:23], v[56:57]
	v_fma_f64 v[203:204], v[147:148], s[16:17], -v[42:43]
	v_add_f64_e32 v[58:59], v[26:27], v[72:73]
	v_add_f64_e32 v[26:27], v[4:5], v[175:176]
	v_fma_f64 v[197:198], v[169:170], s[4:5], v[16:17]
	v_fma_f64 v[16:17], v[169:170], s[4:5], -v[16:17]
	scratch_store_b64 off, v[0:1], off offset:168 ; 8-byte Folded Spill
	v_add_f64_e32 v[0:1], v[54:55], v[125:126]
	v_fma_f64 v[217:218], v[169:170], s[20:21], v[118:119]
	v_fma_f64 v[118:119], v[169:170], s[20:21], -v[118:119]
	v_add_f64_e32 v[48:49], v[24:25], v[70:71]
	v_fma_f64 v[199:200], v[8:9], s[22:23], v[18:19]
	v_fma_f64 v[18:19], v[8:9], s[0:1], v[18:19]
	;; [unrolled: 1-line block ×4, first 2 shown]
	v_add_f64_e32 v[82:83], v[20:21], v[78:79]
	v_add_f64_e32 v[88:89], v[22:23], v[80:81]
	v_mul_f64_e32 v[145:146], s[16:17], v[163:164]
	v_add_f64_e32 v[112:113], v[58:59], v[112:113]
	v_mul_f64_e32 v[58:59], s[22:23], v[102:103]
	v_add_f64_e32 v[24:25], v[4:5], v[197:198]
	v_add_f64_e32 v[16:17], v[4:5], v[16:17]
	v_fma_f64 v[197:198], v[147:148], s[16:17], v[42:43]
	scratch_store_b64 off, v[0:1], off offset:184 ; 8-byte Folded Spill
	v_add_f64_e32 v[0:1], v[56:57], v[127:128]
	v_add_f64_e32 v[217:218], v[4:5], v[217:218]
	;; [unrolled: 1-line block ×5, first 2 shown]
	scratch_store_b64 off, v[26:27], off offset:280 ; 8-byte Folded Spill
	v_add_f64_e32 v[26:27], v[6:7], v[177:178]
	v_add_f64_e32 v[114:115], v[82:83], v[114:115]
	;; [unrolled: 1-line block ×3, first 2 shown]
	v_mul_f64_e32 v[88:89], s[16:17], v[149:150]
	v_add_f64_e32 v[108:109], v[112:113], v[108:109]
	v_mul_f64_e32 v[112:113], s[14:15], v[163:164]
	scratch_store_b64 off, v[0:1], off offset:232 ; 8-byte Folded Spill
	v_add_f64_e64 v[0:1], v[54:55], -v[125:126]
	v_add_f64_e32 v[106:107], v[110:111], v[106:107]
	v_mul_f64_e32 v[110:111], s[36:37], v[167:168]
	v_mul_f64_e32 v[54:55], s[38:39], v[102:103]
	scratch_store_b64 off, v[26:27], off offset:288 ; 8-byte Folded Spill
	v_add_f64_e32 v[26:27], v[4:5], v[205:206]
	v_add_f64_e32 v[114:115], v[114:115], v[125:126]
	v_mul_f64_e32 v[125:126], s[34:35], v[167:168]
	v_add_f64_e32 v[116:117], v[116:117], v[127:128]
	v_fma_f64 v[78:79], v[104:105], s[30:31], v[88:89]
	v_fma_f64 v[88:89], v[104:105], s[28:29], v[88:89]
	;; [unrolled: 1-line block ×3, first 2 shown]
	v_fma_f64 v[221:222], v[153:154], s[20:21], -v[221:222]
	v_add_f64_e32 v[108:109], v[108:109], v[131:132]
	v_fma_f64 v[68:69], v[165:166], s[42:43], v[112:113]
	v_fma_f64 v[233:234], v[165:166], s[36:37], v[112:113]
	scratch_store_b64 off, v[0:1], off offset:128 ; 8-byte Folded Spill
	v_add_f64_e64 v[0:1], v[56:57], -v[127:128]
	v_add_f64_e32 v[106:107], v[106:107], v[129:130]
	v_mul_f64_e32 v[127:128], s[10:11], v[163:164]
	v_fma_f64 v[66:67], v[161:162], s[14:15], v[110:111]
	v_fma_f64 v[229:230], v[161:162], s[14:15], -v[110:111]
	v_fma_f64 v[129:130], v[157:158], s[24:25], v[247:248]
	v_add_f64_e32 v[114:115], v[114:115], v[133:134]
	v_fma_f64 v[247:248], v[157:158], s[26:27], v[247:248]
	v_add_f64_e32 v[116:117], v[116:117], v[135:136]
	v_mul_f64_e32 v[56:57], s[38:39], v[151:152]
	v_fma_f64 v[131:132], v[100:101], s[20:21], v[54:55]
	scratch_store_b64 off, v[26:27], off offset:296 ; 8-byte Folded Spill
	v_add_f64_e32 v[26:27], v[6:7], v[207:208]
	scratch_store_b64 off, v[0:1], off offset:120 ; 8-byte Folded Spill
	v_add_f64_e32 v[0:1], v[74:75], v[133:134]
	v_fma_f64 v[207:208], v[147:148], s[20:21], v[56:57]
	scratch_store_b64 off, v[26:27], off offset:304 ; 8-byte Folded Spill
	v_add_f64_e32 v[26:27], v[4:5], v[179:180]
	v_fma_f64 v[179:180], v[147:148], s[4:5], v[40:41]
	scratch_store_b64 off, v[0:1], off offset:224 ; 8-byte Folded Spill
	v_add_f64_e32 v[0:1], v[76:77], v[135:136]
	scratch_store_b64 off, v[26:27], off offset:312 ; 8-byte Folded Spill
	v_add_f64_e32 v[26:27], v[6:7], v[181:182]
	scratch_store_b64 off, v[0:1], off offset:200 ; 8-byte Folded Spill
	v_add_f64_e64 v[0:1], v[74:75], -v[133:134]
	scratch_store_b64 off, v[26:27], off offset:320 ; 8-byte Folded Spill
	v_add_f64_e32 v[26:27], v[4:5], v[209:210]
	v_fma_f64 v[209:210], v[147:148], s[20:21], -v[56:57]
	scratch_store_b64 off, v[0:1], off offset:192 ; 8-byte Folded Spill
	v_add_f64_e64 v[0:1], v[76:77], -v[135:136]
	v_fma_f64 v[135:136], v[100:101], s[20:21], -v[54:55]
	scratch_store_b64 off, v[26:27], off offset:328 ; 8-byte Folded Spill
	v_add_f64_e32 v[26:27], v[6:7], v[211:212]
	scratch_store_b64 off, v[0:1], off offset:136 ; 8-byte Folded Spill
	v_add_f64_e32 v[0:1], v[50:51], v[141:142]
	;; [unrolled: 2-line block ×3, first 2 shown]
	v_fma_f64 v[183:184], v[147:148], s[4:5], -v[40:41]
	scratch_store_b64 off, v[0:1], off offset:216 ; 8-byte Folded Spill
	v_add_f64_e32 v[0:1], v[52:53], v[143:144]
	scratch_store_b64 off, v[26:27], off offset:344 ; 8-byte Folded Spill
	v_add_f64_e32 v[26:27], v[6:7], v[185:186]
	scratch_store_b64 off, v[0:1], off offset:160 ; 8-byte Folded Spill
	v_add_f64_e64 v[0:1], v[50:51], -v[141:142]
	v_mul_f64_e32 v[50:51], s[30:31], v[102:103]
	scratch_store_b64 off, v[26:27], off offset:352 ; 8-byte Folded Spill
	v_add_f64_e32 v[26:27], v[4:5], v[213:214]
	scratch_store_b64 off, v[0:1], off offset:240 ; 8-byte Folded Spill
	v_add_f64_e64 v[0:1], v[52:53], -v[143:144]
	v_mul_f64_e32 v[52:53], s[26:27], v[102:103]
	scratch_store_b64 off, v[26:27], off offset:360 ; 8-byte Folded Spill
	v_add_f64_e32 v[26:27], v[6:7], v[215:216]
	v_fma_f64 v[215:216], v[153:154], s[14:15], v[223:224]
	scratch_store_b64 off, v[0:1], off offset:208 ; 8-byte Folded Spill
	s_wait_dscnt 0x1
	v_add_f64_e32 v[0:1], v[84:85], v[171:172]
	scratch_store_b64 off, v[26:27], off offset:368 ; 8-byte Folded Spill
	v_add_f64_e32 v[26:27], v[4:5], v[187:188]
	v_add_f64_e32 v[4:5], v[4:5], v[118:119]
	v_fma_f64 v[118:119], v[100:101], s[16:17], -v[50:51]
	scratch_store_b64 off, v[0:1], off offset:24 ; 8-byte Folded Spill
	v_add_f64_e32 v[0:1], v[86:87], v[173:174]
	scratch_store_b64 off, v[4:5], off offset:400 ; 8-byte Folded Spill
	v_add_f64_e32 v[4:5], v[6:7], v[8:9]
	v_add_f64_e32 v[8:9], v[68:69], v[251:252]
	scratch_store_b64 off, v[0:1], off offset:32 ; 8-byte Folded Spill
	v_add_f64_e64 v[0:1], v[84:85], -v[171:172]
	v_mul_f64_e32 v[84:85], s[10:11], v[149:150]
	scratch_store_b64 off, v[4:5], off offset:408 ; 8-byte Folded Spill
	v_add_f64_e32 v[8:9], v[231:232], v[8:9]
	scratch_store_b64 off, v[0:1], off offset:64 ; 8-byte Folded Spill
	v_add_f64_e64 v[0:1], v[86:87], -v[173:174]
	v_mul_f64_e32 v[86:87], s[4:5], v[149:150]
	v_fma_f64 v[56:57], v[104:105], s[18:19], v[84:85]
	v_fma_f64 v[84:85], v[104:105], s[34:35], v[84:85]
	scratch_store_b64 off, v[0:1], off offset:56 ; 8-byte Folded Spill
	s_wait_dscnt 0x0
	v_add_f64_e32 v[0:1], v[12:13], v[191:192]
	v_fma_f64 v[74:75], v[104:105], s[0:1], v[86:87]
	v_fma_f64 v[86:87], v[104:105], s[22:23], v[86:87]
	v_add_f64_e32 v[8:9], v[56:57], v[8:9]
	scratch_store_b64 off, v[0:1], off offset:40 ; 8-byte Folded Spill
	v_add_f64_e32 v[0:1], v[14:15], v[193:194]
	scratch_store_b64 off, v[0:1], off offset:48 ; 8-byte Folded Spill
	v_add_f64_e64 v[0:1], v[12:13], -v[191:192]
	v_mul_f64_e32 v[12:13], s[26:27], v[167:168]
	scratch_store_b64 off, v[0:1], off offset:80 ; 8-byte Folded Spill
	v_add_f64_e64 v[0:1], v[14:15], -v[193:194]
	v_mul_f64_e32 v[14:15], s[12:13], v[163:164]
	v_mul_f64_e32 v[163:164], s[4:5], v[163:164]
	v_fma_f64 v[20:21], v[161:162], s[12:13], v[12:13]
	v_fma_f64 v[12:13], v[161:162], s[12:13], -v[12:13]
	scratch_store_b64 off, v[0:1], off offset:72 ; 8-byte Folded Spill
	v_mul_f64_e32 v[0:1], s[40:41], v[167:168]
	v_mul_f64_e32 v[167:168], s[22:23], v[167:168]
	v_fma_f64 v[22:23], v[165:166], s[24:25], v[14:15]
	v_fma_f64 v[14:15], v[165:166], s[26:27], v[14:15]
	;; [unrolled: 1-line block ×5, first 2 shown]
	v_fma_f64 v[0:1], v[161:162], s[20:21], -v[0:1]
	v_add_f64_e32 v[62:63], v[22:23], v[62:63]
	scratch_store_b64 off, v[0:1], off offset:432 ; 8-byte Folded Spill
	v_fma_f64 v[0:1], v[165:166], s[40:41], v[2:3]
	scratch_store_b64 off, v[0:1], off offset:440 ; 8-byte Folded Spill
	v_add_f64_e32 v[0:1], v[106:107], v[137:138]
	scratch_store_b64 off, v[26:27], off offset:376 ; 8-byte Folded Spill
	v_add_f64_e32 v[26:27], v[6:7], v[189:190]
	v_fma_f64 v[106:107], v[104:105], s[40:41], v[32:33]
	scratch_store_b64 off, v[0:1], off offset:248 ; 8-byte Folded Spill
	v_add_f64_e32 v[0:1], v[108:109], v[139:140]
	scratch_store_b64 off, v[26:27], off offset:384 ; 8-byte Folded Spill
	v_add_f64_e32 v[26:27], v[6:7], v[169:170]
	v_fma_f64 v[169:170], v[147:148], s[10:11], v[123:124]
	v_fma_f64 v[108:109], v[104:105], s[38:39], v[32:33]
	v_mul_f64_e32 v[6:7], s[4:5], v[98:99]
	scratch_store_b64 off, v[0:1], off offset:256 ; 8-byte Folded Spill
	v_fma_f64 v[0:1], v[161:162], s[10:11], v[125:126]
	v_fma_f64 v[253:254], v[96:97], s[22:23], v[6:7]
	scratch_store_b64 off, v[0:1], off offset:448 ; 8-byte Folded Spill
	v_fma_f64 v[0:1], v[165:166], s[18:19], v[127:128]
	scratch_store_b64 off, v[0:1], off offset:456 ; 8-byte Folded Spill
	v_fma_f64 v[0:1], v[161:162], s[10:11], -v[125:126]
	v_mov_b32_e32 v126, v122
	scratch_store_b64 off, v[0:1], off offset:464 ; 8-byte Folded Spill
	v_fma_f64 v[0:1], v[165:166], s[34:35], v[127:128]
	v_fma_f64 v[127:128], v[100:101], s[12:13], -v[52:53]
	scratch_store_b64 off, v[0:1], off offset:472 ; 8-byte Folded Spill
	v_add_f64_e32 v[0:1], v[114:115], v[141:142]
	scratch_store_b64 off, v[26:27], off offset:392 ; 8-byte Folded Spill
	v_fma_f64 v[114:115], v[157:158], s[36:37], v[243:244]
	v_fma_f64 v[243:244], v[157:158], s[42:43], v[243:244]
	v_fma_f64 v[26:27], v[147:148], s[10:11], -v[123:124]
	v_fma_f64 v[124:125], v[100:101], s[12:13], v[52:53]
	scratch_store_b64 off, v[0:1], off offset:264 ; 8-byte Folded Spill
	v_add_f64_e32 v[0:1], v[116:117], v[143:144]
	scratch_store_b64 off, v[4:5], off offset:416 ; 8-byte Folded Spill
	v_fma_f64 v[4:5], v[165:166], s[38:39], v[2:3]
	v_mul_f64_e32 v[2:3], s[12:13], v[98:99]
	v_fma_f64 v[116:117], v[100:101], s[16:17], v[50:51]
	v_fma_f64 v[143:144], v[100:101], s[4:5], v[58:59]
	;; [unrolled: 1-line block ×3, first 2 shown]
	v_mul_f64_e32 v[6:7], s[36:37], v[94:95]
	scratch_store_b64 off, v[0:1], off offset:272 ; 8-byte Folded Spill
	v_fma_f64 v[0:1], v[161:162], s[16:17], v[195:196]
	v_fma_f64 v[38:39], v[96:97], s[24:25], v[2:3]
	;; [unrolled: 1-line block ×3, first 2 shown]
	v_mul_f64_e32 v[2:3], s[18:19], v[94:95]
	v_fma_f64 v[185:186], v[92:93], s[14:15], v[6:7]
	v_fma_f64 v[201:202], v[92:93], s[14:15], -v[6:7]
	v_mul_f64_e32 v[6:7], s[14:15], v[90:91]
	scratch_store_b64 off, v[0:1], off offset:496 ; 8-byte Folded Spill
	v_fma_f64 v[0:1], v[161:162], s[16:17], -v[195:196]
	v_fma_f64 v[175:176], v[92:93], s[10:11], -v[2:3]
	v_fma_f64 v[76:77], v[10:11], s[42:43], v[6:7]
	scratch_store_b64 off, v[0:1], off offset:488 ; 8-byte Folded Spill
	v_fma_f64 v[0:1], v[161:162], s[4:5], v[167:168]
	scratch_store_b64 off, v[4:5], off offset:424 ; 8-byte Folded Spill
	v_fma_f64 v[161:162], v[161:162], s[4:5], -v[167:168]
	v_fma_f64 v[167:168], v[165:166], s[28:29], v[145:146]
	v_fma_f64 v[145:146], v[165:166], s[30:31], v[145:146]
	v_mul_f64_e32 v[165:166], s[28:29], v[159:160]
	v_mul_f64_e32 v[159:160], s[18:19], v[159:160]
	;; [unrolled: 1-line block ×3, first 2 shown]
	scratch_store_b64 off, v[0:1], off offset:480 ; 8-byte Folded Spill
	v_fma_f64 v[0:1], v[153:154], s[14:15], -v[223:224]
	v_fma_f64 v[235:236], v[153:154], s[16:17], v[165:166]
	v_fma_f64 v[199:200], v[153:154], s[16:17], -v[165:166]
	v_fma_f64 v[44:45], v[96:97], s[40:41], v[4:5]
	v_fma_f64 v[46:47], v[96:97], s[38:39], v[4:5]
	v_mul_f64_e32 v[4:5], s[24:25], v[94:95]
	v_fma_f64 v[165:166], v[92:93], s[10:11], v[2:3]
	v_mul_f64_e32 v[2:3], s[10:11], v[90:91]
	scratch_store_b64 off, v[0:1], off offset:552 ; 8-byte Folded Spill
	v_fma_f64 v[0:1], v[153:154], s[4:5], v[225:226]
	v_fma_f64 v[177:178], v[92:93], s[12:13], v[4:5]
	v_fma_f64 v[187:188], v[92:93], s[12:13], -v[4:5]
	v_mul_f64_e32 v[4:5], s[12:13], v[90:91]
	v_fma_f64 v[70:71], v[10:11], s[18:19], v[2:3]
	scratch_store_b64 off, v[0:1], off offset:544 ; 8-byte Folded Spill
	v_fma_f64 v[0:1], v[153:154], s[4:5], -v[225:226]
	v_fma_f64 v[72:73], v[10:11], s[26:27], v[4:5]
	scratch_store_b64 off, v[0:1], off offset:536 ; 8-byte Folded Spill
	v_fma_f64 v[0:1], v[153:154], s[12:13], v[227:228]
	scratch_store_b64 off, v[0:1], off offset:528 ; 8-byte Folded Spill
	v_fma_f64 v[0:1], v[153:154], s[12:13], -v[227:228]
	scratch_store_b64 off, v[0:1], off offset:520 ; 8-byte Folded Spill
	v_fma_f64 v[0:1], v[153:154], s[10:11], v[159:160]
	scratch_store_b64 off, v[0:1], off offset:512 ; 8-byte Folded Spill
	v_fma_f64 v[0:1], v[153:154], s[10:11], -v[159:160]
	v_mul_f64_e32 v[159:160], s[16:17], v[155:156]
	v_mul_f64_e32 v[155:156], s[10:11], v[155:156]
	v_fma_f64 v[153:154], v[100:101], s[4:5], -v[58:59]
	v_fma_f64 v[58:59], v[10:11], s[34:35], v[2:3]
	scratch_store_b64 off, v[0:1], off offset:504 ; 8-byte Folded Spill
	v_mul_f64_e32 v[0:1], s[16:17], v[98:99]
	v_fma_f64 v[249:250], v[157:158], s[30:31], v[159:160]
	v_fma_f64 v[159:160], v[157:158], s[28:29], v[159:160]
	;; [unrolled: 1-line block ×4, first 2 shown]
	v_mul_f64_e32 v[157:158], s[36:37], v[151:152]
	v_mul_f64_e32 v[151:152], s[24:25], v[151:152]
	v_fma_f64 v[34:35], v[96:97], s[28:29], v[0:1]
	v_fma_f64 v[36:37], v[96:97], s[30:31], v[0:1]
	v_mul_f64_e32 v[0:1], s[22:23], v[94:95]
	v_fma_f64 v[141:142], v[147:148], s[14:15], v[157:158]
	v_fma_f64 v[157:158], v[147:148], s[14:15], -v[157:158]
	v_fma_f64 v[223:224], v[147:148], s[12:13], v[151:152]
	v_fma_f64 v[211:212], v[147:148], s[12:13], -v[151:152]
	v_mul_f64_e32 v[151:152], s[14:15], v[149:150]
	v_mul_f64_e32 v[149:150], s[12:13], v[149:150]
	v_add_f64_e32 v[8:9], v[34:35], v[8:9]
	v_fma_f64 v[139:140], v[92:93], s[4:5], v[0:1]
	v_fma_f64 v[147:148], v[92:93], s[4:5], -v[0:1]
	v_mul_f64_e32 v[0:1], s[4:5], v[90:91]
	v_fma_f64 v[48:49], v[104:105], s[42:43], v[151:152]
	v_fma_f64 v[151:152], v[104:105], s[36:37], v[151:152]
	v_fma_f64 v[110:111], v[104:105], s[26:27], v[149:150]
	v_fma_f64 v[149:150], v[104:105], s[24:25], v[149:150]
	v_mul_f64_e32 v[104:105], s[18:19], v[102:103]
	v_mul_f64_e32 v[102:103], s[36:37], v[102:103]
	v_fma_f64 v[52:53], v[10:11], s[0:1], v[0:1]
	v_fma_f64 v[54:55], v[10:11], s[22:23], v[0:1]
	scratch_load_b64 v[0:1], off, off offset:280 th:TH_LOAD_LU ; 8-byte Folded Reload
	v_fma_f64 v[112:113], v[100:101], s[10:11], v[104:105]
	v_fma_f64 v[195:196], v[100:101], s[14:15], v[102:103]
	v_fma_f64 v[213:214], v[100:101], s[14:15], -v[102:103]
	v_mul_f64_e32 v[102:103], s[10:11], v[98:99]
	v_mul_f64_e32 v[98:99], s[14:15], v[98:99]
	v_fma_f64 v[104:105], v[100:101], s[10:11], -v[104:105]
	s_delay_alu instid0(VALU_DEP_3) | instskip(NEXT) | instid1(VALU_DEP_3)
	v_fma_f64 v[32:33], v[96:97], s[34:35], v[102:103]
	v_fma_f64 v[100:101], v[96:97], s[42:43], v[98:99]
	;; [unrolled: 1-line block ×3, first 2 shown]
	v_mul_f64_e32 v[98:99], s[40:41], v[94:95]
	v_mul_f64_e32 v[94:95], s[30:31], v[94:95]
	v_fma_f64 v[102:103], v[96:97], s[18:19], v[102:103]
	v_fma_f64 v[96:97], v[10:11], s[24:25], v[4:5]
	v_add_f64_e32 v[4:5], v[14:15], v[18:19]
	v_fma_f64 v[133:134], v[92:93], s[20:21], v[98:99]
	v_fma_f64 v[189:190], v[92:93], s[16:17], v[94:95]
	v_fma_f64 v[181:182], v[92:93], s[16:17], -v[94:95]
	v_mul_f64_e32 v[94:95], s[20:21], v[90:91]
	v_mul_f64_e32 v[90:91], s[16:17], v[90:91]
	v_fma_f64 v[98:99], v[92:93], s[20:21], -v[98:99]
	v_fma_f64 v[92:93], v[10:11], s[36:37], v[6:7]
	v_add_f64_e32 v[6:7], v[66:67], v[237:238]
	v_fma_f64 v[42:43], v[10:11], s[38:39], v[94:95]
	v_fma_f64 v[94:95], v[10:11], s[40:41], v[94:95]
	;; [unrolled: 1-line block ×4, first 2 shown]
	v_add_f64_e32 v[90:91], v[20:21], v[24:25]
	v_add_f64_e32 v[24:25], v[12:13], v[16:17]
	;; [unrolled: 1-line block ×3, first 2 shown]
	s_delay_alu instid0(VALU_DEP_3) | instskip(NEXT) | instid1(VALU_DEP_2)
	v_add_f64_e32 v[90:91], v[235:236], v[90:91]
	v_add_f64_e32 v[6:7], v[169:170], v[6:7]
	s_delay_alu instid0(VALU_DEP_2) | instskip(NEXT) | instid1(VALU_DEP_2)
	v_add_f64_e32 v[90:91], v[141:142], v[90:91]
	v_add_f64_e32 v[6:7], v[116:117], v[6:7]
	s_delay_alu instid0(VALU_DEP_2) | instskip(SKIP_4) | instid1(VALU_DEP_1)
	v_add_f64_e32 v[112:113], v[112:113], v[90:91]
	s_wait_loadcnt 0x0
	v_add_f64_e32 v[10:11], v[229:230], v[0:1]
	scratch_load_b64 v[0:1], off, off offset:288 th:TH_LOAD_LU ; 8-byte Folded Reload
	v_add_f64_e32 v[10:11], v[221:222], v[10:11]
	v_add_f64_e32 v[10:11], v[26:27], v[10:11]
	s_delay_alu instid0(VALU_DEP_1)
	v_add_f64_e32 v[10:11], v[118:119], v[10:11]
	s_wait_loadcnt 0x0
	v_add_f64_e32 v[12:13], v[233:234], v[0:1]
	s_clause 0x1
	scratch_load_b64 v[0:1], off, off offset:296 th:TH_LOAD_LU
	scratch_load_b64 v[2:3], off, off offset:416 th:TH_LOAD_LU
	v_add_f64_e32 v[12:13], v[241:242], v[12:13]
	s_delay_alu instid0(VALU_DEP_1) | instskip(NEXT) | instid1(VALU_DEP_1)
	v_add_f64_e32 v[12:13], v[84:85], v[12:13]
	v_add_f64_e32 v[12:13], v[36:37], v[12:13]
	s_delay_alu instid0(VALU_DEP_1)
	v_add_f64_e32 v[116:117], v[54:55], v[12:13]
	s_wait_loadcnt 0x0
	v_add_f64_e32 v[14:15], v[2:3], v[0:1]
	s_clause 0x1
	scratch_load_b64 v[0:1], off, off offset:304 th:TH_LOAD_LU
	scratch_load_b64 v[2:3], off, off offset:424 th:TH_LOAD_LU
	v_add_f64_e32 v[14:15], v[215:216], v[14:15]
	s_delay_alu instid0(VALU_DEP_1) | instskip(NEXT) | instid1(VALU_DEP_1)
	v_add_f64_e32 v[14:15], v[179:180], v[14:15]
	v_add_f64_e32 v[14:15], v[124:125], v[14:15]
	v_dual_mov_b32 v124, v126 :: v_dual_add_nc_u32 v125, 39, v239
	s_wait_loadcnt 0x0
	v_add_f64_e32 v[237:238], v[2:3], v[0:1]
	s_clause 0x1
	scratch_load_b64 v[0:1], off, off offset:312 th:TH_LOAD_LU
	scratch_load_b64 v[2:3], off, off offset:432 th:TH_LOAD_LU
	v_add_f64_e32 v[114:115], v[114:115], v[237:238]
	s_delay_alu instid0(VALU_DEP_1) | instskip(NEXT) | instid1(VALU_DEP_1)
	v_add_f64_e32 v[56:57], v[74:75], v[114:115]
	v_add_f64_e32 v[38:39], v[38:39], v[56:57]
	s_wait_loadcnt 0x0
	v_add_f64_e32 v[233:234], v[2:3], v[0:1]
	s_clause 0x1
	scratch_load_b64 v[0:1], off, off offset:320 th:TH_LOAD_LU
	scratch_load_b64 v[2:3], off, off offset:440 th:TH_LOAD_LU
	s_wait_loadcnt 0x0
	v_add_f64_e32 v[229:230], v[2:3], v[0:1]
	s_clause 0x1
	scratch_load_b64 v[0:1], off, off offset:328 th:TH_LOAD_LU
	scratch_load_b64 v[2:3], off, off offset:448 th:TH_LOAD_LU
	v_add_f64_e32 v[221:222], v[243:244], v[229:230]
	s_delay_alu instid0(VALU_DEP_1) | instskip(NEXT) | instid1(VALU_DEP_1)
	v_add_f64_e32 v[84:85], v[86:87], v[221:222]
	v_add_f64_e32 v[40:41], v[40:41], v[84:85]
	s_wait_loadcnt 0x0
	v_add_f64_e32 v[251:252], v[2:3], v[0:1]
	s_clause 0x1
	scratch_load_b64 v[0:1], off, off offset:336 th:TH_LOAD_LU
	scratch_load_b64 v[2:3], off, off offset:456 th:TH_LOAD_LU
	;; [unrolled: 14-line block ×3, first 2 shown]
	s_wait_loadcnt 0x0
	v_add_f64_e32 v[16:17], v[2:3], v[0:1]
	s_clause 0x1
	scratch_load_b64 v[0:1], off, off offset:360 th:TH_LOAD_LU
	scratch_load_b64 v[2:3], off, off offset:496 th:TH_LOAD_LU
	v_add_f64_e32 v[16:17], v[245:246], v[16:17]
	s_delay_alu instid0(VALU_DEP_1) | instskip(NEXT) | instid1(VALU_DEP_1)
	v_add_f64_e32 v[16:17], v[88:89], v[16:17]
	v_add_f64_e32 v[16:17], v[46:47], v[16:17]
	s_wait_loadcnt 0x0
	v_add_f64_e32 v[18:19], v[2:3], v[0:1]
	scratch_load_b64 v[0:1], off, off offset:368 th:TH_LOAD_LU ; 8-byte Folded Reload
	s_wait_loadcnt 0x0
	v_add_f64_e32 v[167:168], v[167:168], v[0:1]
	s_clause 0x4
	scratch_load_b64 v[0:1], off, off offset:376 th:TH_LOAD_LU
	scratch_load_b64 v[2:3], off, off offset:488 th:TH_LOAD_LU
	scratch_load_b64 v[231:232], off, off offset:176
	scratch_load_b64 v[241:242], off, off offset:224
	;; [unrolled: 1-line block ×3, first 2 shown]
	v_add_f64_e32 v[120:121], v[129:130], v[167:168]
	s_delay_alu instid0(VALU_DEP_1) | instskip(NEXT) | instid1(VALU_DEP_1)
	v_add_f64_e32 v[78:79], v[106:107], v[120:121]
	v_add_f64_e32 v[46:47], v[50:51], v[78:79]
	s_wait_loadcnt 0x3
	v_add_f64_e32 v[20:21], v[2:3], v[0:1]
	scratch_load_b64 v[0:1], off, off offset:384 th:TH_LOAD_LU ; 8-byte Folded Reload
	s_wait_loadcnt 0x0
	v_add_f64_e32 v[22:23], v[145:146], v[0:1]
	scratch_load_b64 v[0:1], off, off offset:480 th:TH_LOAD_LU ; 8-byte Folded Reload
	v_add_f64_e32 v[22:23], v[247:248], v[22:23]
	s_delay_alu instid0(VALU_DEP_1) | instskip(NEXT) | instid1(VALU_DEP_1)
	v_add_f64_e32 v[22:23], v[108:109], v[22:23]
	v_add_f64_e32 v[22:23], v[253:254], v[22:23]
	s_wait_loadcnt 0x0
	v_add_f64_e32 v[145:146], v[0:1], v[217:218]
	scratch_load_b64 v[0:1], off, off offset:392 th:TH_LOAD_LU ; 8-byte Folded Reload
	s_wait_loadcnt 0x0
	v_add_f64_e32 v[219:220], v[219:220], v[0:1]
	scratch_load_b64 v[0:1], off, off offset:400 th:TH_LOAD_LU ; 8-byte Folded Reload
	v_add_f64_e32 v[137:138], v[137:138], v[219:220]
	s_delay_alu instid0(VALU_DEP_1) | instskip(NEXT) | instid1(VALU_DEP_1)
	v_add_f64_e32 v[106:107], v[110:111], v[137:138]
	v_add_f64_e32 v[78:79], v[100:101], v[106:107]
	s_wait_loadcnt 0x0
	v_add_f64_e32 v[161:162], v[161:162], v[0:1]
	scratch_load_b64 v[0:1], off, off offset:408 th:TH_LOAD_LU ; 8-byte Folded Reload
	s_wait_loadcnt 0x0
	v_add_f64_e32 v[163:164], v[163:164], v[0:1]
	scratch_load_b64 v[0:1], off, off offset:72 ; 8-byte Folded Reload
	v_add_f64_e32 v[155:156], v[155:156], v[163:164]
	s_delay_alu instid0(VALU_DEP_1)
	v_add_f64_e32 v[110:111], v[149:150], v[155:156]
	s_wait_loadcnt 0x0
	v_mul_f64_e32 v[217:218], s[0:1], v[0:1]
	scratch_load_b64 v[0:1], off, off offset:40 ; 8-byte Folded Reload
	scratch_store_b64 off, v[217:218], off offset:296 ; 8-byte Folded Spill
	s_wait_loadcnt 0x0
	v_fma_f64 v[227:228], v[0:1], s[4:5], v[217:218]
	scratch_load_b128 v[0:3], off, off offset:8 ; 16-byte Folded Reload
	s_wait_loadcnt 0x0
	v_add_f64_e32 v[227:228], v[0:1], v[227:228]
	scratch_load_b64 v[0:1], off, off offset:56 ; 8-byte Folded Reload
	s_wait_loadcnt 0x0
	v_mul_f64_e32 v[217:218], s[26:27], v[0:1]
	scratch_load_b64 v[0:1], off, off offset:24 ; 8-byte Folded Reload
	scratch_store_b64 off, v[217:218], off offset:280 ; 8-byte Folded Spill
	s_wait_loadcnt 0x0
	v_fma_f64 v[217:218], v[0:1], s[12:13], v[217:218]
	scratch_load_b64 v[0:1], off, off offset:80 ; 8-byte Folded Reload
	v_add_f64_e32 v[217:218], v[217:218], v[227:228]
	s_wait_loadcnt 0x0
	v_mul_f64_e32 v[225:226], s[0:1], v[0:1]
	scratch_load_b64 v[0:1], off, off offset:48 ; 8-byte Folded Reload
	s_mov_b32 s1, exec_lo
	scratch_store_b64 off, v[225:226], off offset:304 ; 8-byte Folded Spill
	s_wait_loadcnt 0x0
	v_fma_f64 v[227:228], v[0:1], s[4:5], -v[225:226]
	scratch_load_b64 v[0:1], off, off offset:64 ; 8-byte Folded Reload
	v_add_f64_e32 v[227:228], v[2:3], v[227:228]
	v_add_f64_e32 v[2:3], v[199:200], v[24:25]
	;; [unrolled: 1-line block ×3, first 2 shown]
	s_delay_alu instid0(VALU_DEP_2) | instskip(NEXT) | instid1(VALU_DEP_2)
	v_add_f64_e32 v[141:142], v[157:158], v[2:3]
	v_add_f64_e32 v[151:152], v[151:152], v[199:200]
	s_delay_alu instid0(VALU_DEP_2)
	v_add_f64_e32 v[104:105], v[104:105], v[141:142]
	s_wait_loadcnt 0x0
	v_mul_f64_e32 v[225:226], s[26:27], v[0:1]
	scratch_load_b64 v[0:1], off, off offset:32 ; 8-byte Folded Reload
	scratch_store_b64 off, v[225:226], off offset:288 ; 8-byte Folded Spill
	s_wait_loadcnt 0x0
	v_fma_f64 v[225:226], v[0:1], s[12:13], -v[225:226]
	v_add_f64_e32 v[0:1], v[249:250], v[62:63]
	s_clause 0x2
	scratch_load_b64 v[62:63], off, off offset:168
	scratch_load_b64 v[237:238], off, off offset:152
	scratch_load_b64 v[4:5], off, off offset:552 th:TH_LOAD_LU
	v_add_f64_e32 v[225:226], v[225:226], v[227:228]
	v_add_f64_e32 v[48:49], v[48:49], v[0:1]
	s_delay_alu instid0(VALU_DEP_1) | instskip(NEXT) | instid1(VALU_DEP_1)
	v_add_f64_e32 v[48:49], v[32:33], v[48:49]
	v_add_f64_e32 v[26:27], v[42:43], v[48:49]
	s_wait_loadcnt 0x1
	v_mul_f64_e32 v[34:35], s[40:41], v[237:238]
	s_wait_loadcnt 0x0
	v_add_f64_e32 v[205:206], v[4:5], v[233:234]
	s_clause 0x4
	scratch_load_b64 v[227:228], off, off offset:240
	scratch_load_b64 v[233:234], off, off offset:184
	;; [unrolled: 1-line block ×4, first 2 shown]
	scratch_load_b64 v[4:5], off, off offset:544 th:TH_LOAD_LU
	v_mul_f64_e32 v[90:91], s[40:41], v[62:63]
	v_add_f64_e32 v[74:75], v[183:184], v[205:206]
	s_delay_alu instid0(VALU_DEP_1) | instskip(SKIP_2) | instid1(VALU_DEP_4)
	v_add_f64_e32 v[56:57], v[127:128], v[74:75]
	v_add_f64_e32 v[126:127], v[165:166], v[14:15]
	s_wait_loadcnt 0x1
	v_fma_f64 v[100:101], v[229:230], s[20:21], v[90:91]
	s_wait_loadcnt 0x0
	v_add_f64_e32 v[215:216], v[4:5], v[251:252]
	scratch_load_b64 v[4:5], off, off offset:536 th:TH_LOAD_LU ; 8-byte Folded Reload
	v_add_f64_e32 v[86:87], v[197:198], v[215:216]
	s_delay_alu instid0(VALU_DEP_1) | instskip(SKIP_2) | instid1(VALU_DEP_2)
	v_add_f64_e32 v[74:75], v[131:132], v[86:87]
	v_add_f64_e32 v[86:87], v[122:123], v[110:111]
	v_fma_f64 v[110:111], v[231:232], s[20:21], -v[34:35]
	v_add_f64_e32 v[156:157], v[82:83], v[86:87]
	s_wait_loadcnt 0x0
	v_add_f64_e32 v[68:69], v[4:5], v[68:69]
	s_clause 0x1
	scratch_load_b64 v[245:246], off, off offset:216
	scratch_load_b64 v[4:5], off, off offset:528 th:TH_LOAD_LU
	v_add_f64_e32 v[68:69], v[203:204], v[68:69]
	s_delay_alu instid0(VALU_DEP_1)
	v_add_f64_e32 v[66:67], v[135:136], v[68:69]
	v_add_f64_e32 v[136:137], v[72:73], v[44:45]
	s_wait_loadcnt 0x0
	v_add_f64_e32 v[18:19], v[4:5], v[18:19]
	s_clause 0x1
	scratch_load_b64 v[167:168], off, off offset:192
	scratch_load_b64 v[4:5], off, off offset:520 th:TH_LOAD_LU
	v_add_f64_e32 v[18:19], v[207:208], v[18:19]
	s_delay_alu instid0(VALU_DEP_1) | instskip(NEXT) | instid1(VALU_DEP_1)
	v_add_f64_e32 v[18:19], v[143:144], v[18:19]
	v_add_f64_e32 v[142:143], v[185:186], v[18:19]
	s_wait_loadcnt 0x0
	v_add_f64_e32 v[20:21], v[4:5], v[20:21]
	scratch_load_b64 v[4:5], off, off offset:512 th:TH_LOAD_LU ; 8-byte Folded Reload
	v_add_f64_e32 v[20:21], v[209:210], v[20:21]
	s_delay_alu instid0(VALU_DEP_1)
	v_add_f64_e32 v[20:21], v[153:154], v[20:21]
	s_wait_loadcnt 0x0
	v_add_f64_e32 v[129:130], v[4:5], v[145:146]
	s_clause 0x4
	scratch_load_b64 v[219:220], off, off offset:208
	scratch_load_b64 v[4:5], off, off offset:504 th:TH_LOAD_LU
	scratch_load_b64 v[169:170], off, off offset:128
	scratch_load_b64 v[183:184], off, off offset:120
	scratch_load_b64 v[24:25], off, off offset:248 th:TH_LOAD_LU
	v_add_f64_e32 v[88:89], v[223:224], v[129:130]
	v_add_f64_e32 v[129:130], v[102:103], v[151:152]
	;; [unrolled: 1-line block ×4, first 2 shown]
	s_delay_alu instid0(VALU_DEP_4) | instskip(NEXT) | instid1(VALU_DEP_4)
	v_add_f64_e32 v[50:51], v[195:196], v[88:89]
	v_add_f64_e32 v[104:105], v[94:95], v[129:130]
	;; [unrolled: 1-line block ×4, first 2 shown]
	s_delay_alu instid0(VALU_DEP_4)
	v_add_f64_e32 v[150:151], v[189:190], v[50:51]
	s_wait_loadcnt 0x3
	v_add_f64_e32 v[145:146], v[4:5], v[161:162]
	v_mul_f64_e32 v[4:5], s[28:29], v[219:220]
	s_wait_loadcnt 0x0
	v_add_f64_e32 v[106:107], v[24:25], v[28:29]
	scratch_load_b64 v[24:25], off, off offset:256 th:TH_LOAD_LU ; 8-byte Folded Reload
	v_add_f64_e32 v[28:29], v[139:140], v[6:7]
	v_add_f64_e32 v[138:139], v[187:188], v[66:67]
	;; [unrolled: 1-line block ×4, first 2 shown]
	v_fma_f64 v[159:160], v[245:246], s[16:17], v[4:5]
	v_add_f64_e32 v[144:145], v[76:77], v[46:47]
	s_delay_alu instid0(VALU_DEP_3) | instskip(NEXT) | instid1(VALU_DEP_3)
	v_add_f64_e32 v[84:85], v[213:214], v[108:109]
	v_add_f64_e32 v[161:162], v[159:160], v[217:218]
	scratch_load_b64 v[217:218], off, off offset:160 ; 8-byte Folded Reload
	v_mul_f64_e32 v[159:160], s[28:29], v[227:228]
	v_add_f64_e32 v[154:155], v[181:182], v[84:85]
	s_wait_loadcnt 0x1
	v_add_f64_e32 v[108:109], v[24:25], v[30:31]
	scratch_load_b64 v[24:25], off, off offset:264 th:TH_LOAD_LU ; 8-byte Folded Reload
	v_add_f64_e32 v[30:31], v[52:53], v[8:9]
	scratch_load_b128 v[6:9], off, off offset:104 th:TH_LOAD_LU ; 16-byte Folded Reload
	v_mul_f64_e32 v[36:37], s[18:19], v[183:184]
	s_delay_alu instid0(VALU_DEP_1) | instskip(SKIP_2) | instid1(VALU_DEP_1)
	v_fma_f64 v[68:69], v[233:234], s[10:11], v[36:37]
	s_wait_loadcnt 0x2
	v_fma_f64 v[163:164], v[217:218], s[16:17], -v[159:160]
	v_add_f64_e32 v[163:164], v[163:164], v[225:226]
	scratch_load_b64 v[225:226], off, off offset:136 ; 8-byte Folded Reload
	v_mul_f64_e32 v[32:33], s[18:19], v[169:170]
	s_delay_alu instid0(VALU_DEP_1)
	v_fma_f64 v[88:89], v[235:236], s[10:11], -v[32:33]
	s_wait_loadcnt 0x2
	v_add_f64_e32 v[118:119], v[24:25], v[171:172]
	scratch_load_b64 v[24:25], off, off offset:272 th:TH_LOAD_LU ; 8-byte Folded Reload
	s_wait_loadcnt 0x2
	v_add_f64_e32 v[18:19], v[108:109], v[8:9]
	v_add_f64_e32 v[16:17], v[106:107], v[6:7]
	v_mul_u32_u24_e32 v6, 0xd0, v239
	global_wb scope:SCOPE_SE
	s_wait_loadcnt 0x0
	s_wait_storecnt 0x0
	s_barrier_signal -1
	s_barrier_wait -1
	global_inv scope:SCOPE_SE
	v_add3_u32 v6, 0, v6, v124
	v_add_f64_e32 v[8:9], v[118:119], v[191:192]
	v_mul_f64_e32 v[0:1], s[36:37], v[225:226]
	s_delay_alu instid0(VALU_DEP_1) | instskip(NEXT) | instid1(VALU_DEP_1)
	v_fma_f64 v[2:3], v[241:242], s[14:15], v[0:1]
	v_add_f64_e32 v[114:115], v[2:3], v[161:162]
	v_mul_f64_e32 v[2:3], s[36:37], v[167:168]
	s_delay_alu instid0(VALU_DEP_2) | instskip(NEXT) | instid1(VALU_DEP_2)
	v_add_f64_e32 v[68:69], v[68:69], v[114:115]
	v_fma_f64 v[120:121], v[243:244], s[14:15], -v[2:3]
	v_add_f64_e32 v[114:115], v[147:148], v[10:11]
	v_add_f64_e32 v[146:147], v[201:202], v[20:21]
	;; [unrolled: 1-line block ×5, first 2 shown]
	s_delay_alu instid0(VALU_DEP_1)
	v_add_f64_e32 v[88:89], v[88:89], v[120:121]
	v_add_f64_e32 v[120:121], v[24:25], v[173:174]
	;; [unrolled: 1-line block ×5, first 2 shown]
	ds_store_b128 v6, v[28:31] offset:32
	ds_store_b128 v6, v[126:129] offset:48
	;; [unrolled: 1-line block ×10, first 2 shown]
	ds_store_b128 v6, v[16:19]
	ds_store_b128 v6, v[24:27] offset:16
	ds_store_b128 v6, v[102:105] offset:192
	v_add_f64_e32 v[14:15], v[110:111], v[88:89]
	v_add_f64_e32 v[10:11], v[120:121], v[193:194]
	v_cmpx_gt_u32_e32 3, v239
	s_cbranch_execz .LBB0_20
; %bb.19:
	s_clause 0x5
	scratch_load_b64 v[56:57], off, off offset:80 th:TH_LOAD_LU
	scratch_load_b64 v[58:59], off, off offset:72 th:TH_LOAD_LU
	;; [unrolled: 1-line block ×6, first 2 shown]
	v_mul_f64_e32 v[26:27], s[18:19], v[227:228]
	v_mul_f64_e32 v[44:45], s[26:27], v[227:228]
	;; [unrolled: 1-line block ×5, first 2 shown]
	scratch_load_b64 v[247:248], off, off offset:24 th:TH_LOAD_LU ; 8-byte Folded Reload
	v_mul_f64_e32 v[100:101], s[24:25], v[225:226]
	v_mul_f64_e32 v[130:131], s[38:39], v[225:226]
	;; [unrolled: 1-line block ×5, first 2 shown]
	s_clause 0x1
	scratch_load_b128 v[225:228], off, off offset:8 th:TH_LOAD_LU
	scratch_load_b64 v[249:250], off, off offset:32 th:TH_LOAD_LU
	v_mul_f64_e32 v[28:29], s[18:19], v[219:220]
	v_mul_f64_e32 v[98:99], s[24:25], v[167:168]
	v_mul_f64_e32 v[128:129], s[38:39], v[167:168]
	v_mul_f64_e32 v[132:133], s[36:37], v[183:184]
	v_mul_f64_e32 v[144:145], s[22:23], v[183:184]
	v_mul_f64_e32 v[148:149], s[28:29], v[167:168]
	v_mul_f64_e32 v[150:151], s[38:39], v[183:184]
	v_mul_f64_e32 v[156:157], s[22:23], v[167:168]
	v_mul_f64_e32 v[163:164], s[34:35], v[167:168]
	v_mul_f64_e32 v[167:168], s[26:27], v[183:184]
	v_mul_f64_e32 v[179:180], s[30:31], v[183:184]
	v_mul_f64_e32 v[52:53], s[26:27], v[219:220]
	v_mul_f64_e32 v[24:25], s[16:17], v[217:218]
	v_mul_f64_e32 v[70:71], s[22:23], v[219:220]
	v_mul_f64_e32 v[78:79], s[42:43], v[219:220]
	v_mul_f64_e32 v[86:87], s[40:41], v[219:220]
	v_mul_f64_e32 v[22:23], s[16:17], v[245:246]
	v_mul_f64_e32 v[126:127], s[36:37], v[169:170]
	v_mul_f64_e32 v[134:135], s[30:31], v[237:238]
	v_mul_f64_e32 v[106:107], s[14:15], v[241:242]
	v_mul_f64_e32 v[108:109], s[14:15], v[243:244]
	v_mul_f64_e32 v[140:141], s[22:23], v[169:170]
	v_mul_f64_e32 v[146:147], s[38:39], v[169:170]
	v_mul_f64_e32 v[154:155], s[26:27], v[169:170]
	v_mul_f64_e32 v[169:170], s[30:31], v[169:170]
	v_fma_f64 v[181:182], v[217:218], s[10:11], v[26:27]
	v_fma_f64 v[26:27], v[217:218], s[10:11], -v[26:27]
	v_fma_f64 v[205:206], v[217:218], s[4:5], v[66:67]
	v_fma_f64 v[66:67], v[217:218], s[4:5], -v[66:67]
	;; [unrolled: 2-line block ×3, first 2 shown]
	v_fma_f64 v[223:224], v[241:242], s[12:13], -v[100:101]
	v_fma_f64 v[100:101], v[241:242], s[12:13], v[100:101]
	v_mul_f64_e32 v[110:111], s[10:11], v[233:234]
	v_mul_f64_e32 v[112:113], s[10:11], v[235:236]
	v_mul_f64_e32 v[138:139], s[36:37], v[237:238]
	v_mul_f64_e32 v[142:143], s[36:37], v[62:63]
	v_mul_f64_e32 v[136:137], s[30:31], v[62:63]
	v_fma_f64 v[183:184], v[245:246], s[10:11], -v[28:29]
	v_fma_f64 v[221:222], v[243:244], s[12:13], v[98:99]
	v_fma_f64 v[28:29], v[245:246], s[10:11], v[28:29]
	v_fma_f64 v[98:99], v[243:244], s[12:13], -v[98:99]
	v_mul_f64_e32 v[120:121], s[20:21], v[229:230]
	v_mul_f64_e32 v[122:123], s[20:21], v[231:232]
	v_fma_f64 v[201:202], v[245:246], s[12:13], -v[52:53]
	v_fma_f64 v[52:53], v[245:246], s[12:13], v[52:53]
	v_add_f64_e32 v[24:25], v[159:160], v[24:25]
	v_fma_f64 v[211:212], v[245:246], s[14:15], -v[78:79]
	v_fma_f64 v[78:79], v[245:246], s[14:15], v[78:79]
	v_add_f64_e64 v[4:5], v[22:23], -v[4:5]
	v_fma_f64 v[158:159], v[243:244], s[20:21], v[128:129]
	v_add_f64_e64 v[0:1], v[106:107], -v[0:1]
	v_add_f64_e32 v[2:3], v[2:3], v[108:109]
	v_fma_f64 v[106:107], v[235:236], s[12:13], v[154:155]
	v_add_f64_e32 v[32:33], v[32:33], v[112:113]
	v_add_f64_e64 v[90:91], v[120:121], -v[90:91]
	s_wait_loadcnt 0x8
	v_mul_f64_e32 v[6:7], s[40:41], v[56:57]
	s_wait_loadcnt 0x7
	v_mul_f64_e32 v[114:115], s[40:41], v[58:59]
	v_mul_f64_e32 v[38:39], s[18:19], v[58:59]
	s_wait_loadcnt 0x5
	v_mul_f64_e32 v[30:31], s[22:23], v[88:89]
	v_mul_f64_e32 v[42:43], s[36:37], v[58:59]
	;; [unrolled: 1-line block ×4, first 2 shown]
	s_wait_loadcnt 0x3
	v_mul_f64_e32 v[18:19], s[4:5], v[197:198]
	v_mul_f64_e32 v[20:21], s[4:5], v[199:200]
	;; [unrolled: 1-line block ×11, first 2 shown]
	s_wait_loadcnt 0x0
	v_mul_f64_e32 v[16:17], s[12:13], v[249:250]
	v_mul_f64_e32 v[76:77], s[40:41], v[84:85]
	;; [unrolled: 1-line block ×6, first 2 shown]
	v_fma_f64 v[94:95], v[199:200], s[20:21], v[6:7]
	v_fma_f64 v[96:97], v[197:198], s[20:21], -v[114:115]
	v_fma_f64 v[114:115], v[197:198], s[20:21], v[114:115]
	v_fma_f64 v[173:174], v[247:248], s[4:5], -v[30:31]
	v_fma_f64 v[177:178], v[197:198], s[10:11], -v[38:39]
	v_fma_f64 v[38:39], v[197:198], s[10:11], v[38:39]
	v_fma_f64 v[187:188], v[197:198], s[14:15], -v[42:43]
	v_fma_f64 v[42:43], v[197:198], s[14:15], v[42:43]
	;; [unrolled: 2-line block ×4, first 2 shown]
	scratch_load_b64 v[197:198], off, off offset:304 th:TH_LOAD_LU ; 8-byte Folded Reload
	v_fma_f64 v[6:7], v[199:200], s[20:21], -v[6:7]
	v_fma_f64 v[171:172], v[249:250], s[4:5], v[116:117]
	v_fma_f64 v[116:117], v[249:250], s[4:5], -v[116:117]
	v_fma_f64 v[175:176], v[199:200], s[10:11], v[118:119]
	;; [unrolled: 2-line block ×4, first 2 shown]
	v_fma_f64 v[193:194], v[199:200], s[12:13], v[56:57]
	v_fma_f64 v[56:57], v[199:200], s[12:13], -v[56:57]
	v_fma_f64 v[48:49], v[199:200], s[16:17], -v[48:49]
	v_fma_f64 v[30:31], v[247:248], s[4:5], v[30:31]
	v_fma_f64 v[199:200], v[249:250], s[16:17], v[46:47]
	v_fma_f64 v[203:204], v[247:248], s[16:17], -v[54:55]
	v_fma_f64 v[46:47], v[249:250], s[16:17], -v[46:47]
	v_fma_f64 v[54:55], v[247:248], s[16:17], v[54:55]
	v_fma_f64 v[207:208], v[249:250], s[10:11], v[68:69]
	v_fma_f64 v[68:69], v[249:250], s[10:11], -v[68:69]
	v_fma_f64 v[209:210], v[249:250], s[20:21], v[76:77]
	v_fma_f64 v[219:220], v[247:248], s[14:15], v[88:89]
	v_fma_f64 v[213:214], v[247:248], s[20:21], -v[80:81]
	v_fma_f64 v[76:77], v[249:250], s[20:21], -v[76:77]
	v_fma_f64 v[80:81], v[247:248], s[20:21], v[80:81]
	v_fma_f64 v[88:89], v[247:248], s[14:15], -v[88:89]
	v_add_f64_e32 v[94:95], v[227:228], v[94:95]
	v_add_f64_e32 v[96:97], v[225:226], v[96:97]
	;; [unrolled: 1-line block ×19, first 2 shown]
	v_fma_f64 v[171:172], v[247:248], s[10:11], -v[72:73]
	v_fma_f64 v[72:73], v[247:248], s[10:11], v[72:73]
	v_fma_f64 v[173:174], v[217:218], s[14:15], v[74:75]
	v_fma_f64 v[74:75], v[217:218], s[14:15], -v[74:75]
	v_add_f64_e32 v[30:31], v[30:31], v[114:115]
	v_add_f64_e32 v[38:39], v[54:55], v[38:39]
	v_fma_f64 v[54:55], v[235:236], s[14:15], v[126:127]
	v_add_f64_e32 v[50:51], v[80:81], v[50:51]
	v_fma_f64 v[126:127], v[235:236], s[14:15], -v[126:127]
	v_add_f64_e32 v[58:59], v[219:220], v[58:59]
	v_add_f64_e32 v[6:7], v[116:117], v[6:7]
	v_fma_f64 v[116:117], v[245:246], s[4:5], -v[70:71]
	v_fma_f64 v[70:71], v[245:246], s[4:5], v[70:71]
	v_add_f64_e32 v[114:115], v[199:200], v[175:176]
	v_add_f64_e32 v[175:176], v[203:204], v[177:178]
	;; [unrolled: 1-line block ×6, first 2 shown]
	v_fma_f64 v[68:69], v[241:242], s[20:21], -v[130:131]
	v_add_f64_e32 v[48:49], v[76:77], v[48:49]
	v_fma_f64 v[185:186], v[231:232], s[16:17], v[134:135]
	v_add_f64_e32 v[94:95], v[181:182], v[94:95]
	v_add_f64_e32 v[96:97], v[183:184], v[96:97]
	scratch_load_b64 v[183:184], off, off offset:288 th:TH_LOAD_LU ; 8-byte Folded Reload
	v_add_f64_e32 v[181:182], v[225:226], v[195:196]
	v_add_f64_e32 v[118:119], v[171:172], v[187:188]
	;; [unrolled: 1-line block ×4, first 2 shown]
	v_fma_f64 v[72:73], v[233:234], s[14:15], -v[132:133]
	v_add_f64_e32 v[28:29], v[28:29], v[30:31]
	v_add_f64_e32 v[38:39], v[52:53], v[38:39]
	;; [unrolled: 1-line block ×3, first 2 shown]
	v_fma_f64 v[78:79], v[241:242], s[10:11], -v[165:166]
	v_fma_f64 v[52:53], v[233:234], s[4:5], -v[144:145]
	v_add_f64_e32 v[6:7], v[26:27], v[6:7]
	v_add_f64_e32 v[26:27], v[225:226], v[191:192]
	v_fma_f64 v[187:188], v[229:230], s[16:17], -v[136:137]
	v_add_f64_e32 v[76:77], v[201:202], v[175:176]
	v_add_f64_e32 v[40:41], v[66:67], v[40:41]
	;; [unrolled: 1-line block ×3, first 2 shown]
	v_fma_f64 v[66:67], v[241:242], s[4:5], -v[161:162]
	v_add_f64_e32 v[48:49], v[74:75], v[48:49]
	v_fma_f64 v[74:75], v[243:244], s[10:11], v[163:164]
	v_add_f64_e32 v[80:81], v[221:222], v[94:95]
	v_add_f64_e32 v[94:95], v[223:224], v[96:97]
	v_fma_f64 v[96:97], v[231:232], s[16:17], -v[134:135]
	v_add_f64_e32 v[88:89], v[88:89], v[181:182]
	v_add_f64_e32 v[116:117], v[116:117], v[118:119]
	v_fma_f64 v[118:119], v[243:244], s[4:5], v[156:157]
	v_add_f64_e32 v[42:43], v[70:71], v[42:43]
	v_fma_f64 v[70:71], v[243:244], s[4:5], -v[156:157]
	v_fma_f64 v[156:157], v[241:242], s[10:11], v[165:166]
	v_fma_f64 v[134:135], v[241:242], s[4:5], v[161:162]
	v_add_f64_e32 v[28:29], v[100:101], v[28:29]
	v_mul_f64_e32 v[100:101], s[18:19], v[237:238]
	v_add_f64_e32 v[6:7], v[98:99], v[6:7]
	v_add_f64_e32 v[26:27], v[213:214], v[26:27]
	v_fma_f64 v[98:99], v[233:234], s[14:15], v[132:133]
	v_fma_f64 v[132:133], v[241:242], s[16:17], v[152:153]
	v_add_f64_e32 v[68:69], v[68:69], v[76:77]
	v_add_f64_e32 v[54:55], v[54:55], v[80:81]
	;; [unrolled: 1-line block ×3, first 2 shown]
	v_fma_f64 v[94:95], v[233:234], s[20:21], v[150:151]
	v_add_f64_e32 v[48:49], v[70:71], v[48:49]
	v_fma_f64 v[70:71], v[233:234], s[12:13], v[167:168]
	v_add_f64_e32 v[50:51], v[134:135], v[50:51]
	v_add_f64_e32 v[6:7], v[126:127], v[6:7]
	;; [unrolled: 1-line block ×3, first 2 shown]
	v_mul_f64_e32 v[126:127], s[22:23], v[237:238]
	v_add_f64_e32 v[42:43], v[132:133], v[42:43]
	v_fma_f64 v[132:133], v[233:234], s[16:17], v[179:180]
	v_add_f64_e32 v[52:53], v[52:53], v[68:69]
	v_fma_f64 v[68:69], v[231:232], s[14:15], -v[138:139]
	v_add_f64_e32 v[28:29], v[98:99], v[28:29]
	v_add_f64_e32 v[50:51], v[70:71], v[50:51]
	;; [unrolled: 1-line block ×3, first 2 shown]
	v_fma_f64 v[66:67], v[235:236], s[16:17], v[169:170]
	v_add_f64_e32 v[42:43], v[94:95], v[42:43]
	v_fma_f64 v[112:113], v[231:232], s[4:5], v[126:127]
	s_wait_loadcnt 0x1
	v_add_f64_e32 v[20:21], v[197:198], v[20:21]
	scratch_load_b64 v[197:198], off, off offset:296 th:TH_LOAD_LU ; 8-byte Folded Reload
	v_add_f64_e32 v[20:21], v[227:228], v[20:21]
	s_wait_loadcnt 0x1
	v_add_f64_e32 v[16:17], v[183:184], v[16:17]
	scratch_load_b64 v[183:184], off, off offset:280 th:TH_LOAD_LU ; 8-byte Folded Reload
	v_add_f64_e32 v[16:17], v[16:17], v[20:21]
	v_fma_f64 v[20:21], v[235:236], s[4:5], v[140:141]
	s_delay_alu instid0(VALU_DEP_2) | instskip(NEXT) | instid1(VALU_DEP_1)
	v_add_f64_e32 v[16:17], v[24:25], v[16:17]
	v_add_f64_e32 v[2:3], v[2:3], v[16:17]
	v_add_f64_e64 v[16:17], v[110:111], -v[36:37]
	v_fma_f64 v[36:37], v[231:232], s[14:15], v[138:139]
	s_wait_loadcnt 0x1
	v_add_f64_e64 v[18:19], v[18:19], -v[197:198]
	v_fma_f64 v[197:198], v[217:218], s[12:13], v[44:45]
	v_fma_f64 v[44:45], v[217:218], s[12:13], -v[44:45]
	v_fma_f64 v[217:218], v[249:250], s[14:15], -v[84:85]
	v_fma_f64 v[84:85], v[249:250], s[14:15], v[84:85]
	v_add_f64_e32 v[18:19], v[225:226], v[18:19]
	v_add_f64_e32 v[30:31], v[197:198], v[114:115]
	v_fma_f64 v[114:115], v[243:244], s[20:21], -v[128:129]
	v_add_f64_e32 v[56:57], v[217:218], v[56:57]
	v_add_f64_e32 v[84:85], v[84:85], v[177:178]
	;; [unrolled: 1-line block ×3, first 2 shown]
	v_fma_f64 v[46:47], v[243:244], s[16:17], v[148:149]
	v_fma_f64 v[128:129], v[241:242], s[16:17], -v[152:153]
	v_fma_f64 v[152:153], v[243:244], s[10:11], -v[163:164]
	v_add_f64_e32 v[30:31], v[158:159], v[30:31]
	v_add_f64_e32 v[56:57], v[82:83], v[56:57]
	;; [unrolled: 1-line block ×4, first 2 shown]
	v_fma_f64 v[44:45], v[233:234], s[4:5], v[144:145]
	v_mul_f64_e32 v[114:115], s[18:19], v[62:63]
	v_mul_f64_e32 v[82:83], s[24:25], v[237:238]
	v_add_f64_e32 v[22:23], v[46:47], v[22:23]
	v_mul_f64_e32 v[46:47], s[24:25], v[62:63]
	v_fma_f64 v[84:85], v[235:236], s[20:21], v[146:147]
	s_wait_loadcnt 0x0
	v_add_f64_e64 v[92:93], v[92:93], -v[183:184]
	v_fma_f64 v[183:184], v[245:246], s[20:21], -v[86:87]
	v_fma_f64 v[86:87], v[245:246], s[20:21], v[86:87]
	v_add_f64_e32 v[20:21], v[20:21], v[30:31]
	v_fma_f64 v[30:31], v[229:230], s[14:15], -v[142:143]
	v_add_f64_e32 v[56:57], v[152:153], v[56:57]
	v_add_f64_e32 v[74:75], v[74:75], v[76:77]
	v_fma_f64 v[76:77], v[233:234], s[16:17], -v[179:180]
	v_fma_f64 v[94:95], v[229:230], s[10:11], -v[114:115]
	;; [unrolled: 1-line block ×3, first 2 shown]
	v_fma_f64 v[46:47], v[229:230], s[12:13], v[46:47]
	v_add_f64_e32 v[84:85], v[84:85], v[22:23]
	v_add_f64_e32 v[18:19], v[92:93], v[18:19]
	v_fma_f64 v[92:93], v[241:242], s[20:21], v[130:131]
	v_fma_f64 v[130:131], v[243:244], s[16:17], -v[148:149]
	v_add_f64_e32 v[148:149], v[173:174], v[171:172]
	v_add_f64_e32 v[58:59], v[86:87], v[58:59]
	;; [unrolled: 1-line block ×4, first 2 shown]
	v_mul_f64_e32 v[128:129], s[22:23], v[62:63]
	v_fma_f64 v[86:87], v[233:234], s[20:21], -v[150:151]
	v_fma_f64 v[116:117], v[233:234], s[12:13], -v[167:168]
	v_add_f64_e32 v[22:23], v[36:37], v[20:21]
	v_add_f64_e32 v[20:21], v[30:31], v[52:53]
	;; [unrolled: 1-line block ×4, first 2 shown]
	v_fma_f64 v[18:19], v[235:236], s[4:5], -v[140:141]
	v_add_f64_e32 v[38:39], v[92:93], v[38:39]
	v_fma_f64 v[92:93], v[235:236], s[20:21], -v[146:147]
	v_add_f64_e32 v[40:41], v[130:131], v[40:41]
	v_add_f64_e32 v[108:109], v[118:119], v[148:149]
	v_fma_f64 v[130:131], v[235:236], s[16:17], -v[169:170]
	v_add_f64_e32 v[58:59], v[156:157], v[58:59]
	v_fma_f64 v[118:119], v[235:236], s[12:13], -v[154:155]
	v_add_f64_e32 v[78:79], v[78:79], v[80:81]
	v_fma_f64 v[80:81], v[229:230], s[14:15], v[142:143]
	v_fma_f64 v[110:111], v[229:230], s[4:5], v[128:129]
	v_add_f64_e32 v[86:87], v[86:87], v[88:89]
	v_fma_f64 v[88:89], v[231:232], s[10:11], v[100:101]
	v_fma_f64 v[100:101], v[231:232], s[10:11], -v[100:101]
	v_add_f64_e32 v[70:71], v[116:117], v[26:27]
	v_fma_f64 v[74:75], v[229:230], s[4:5], -v[128:129]
	v_add_f64_e32 v[0:1], v[0:1], v[4:5]
	v_add_f64_e32 v[24:25], v[18:19], v[24:25]
	v_add_f64_e32 v[38:39], v[44:45], v[38:39]
	v_fma_f64 v[4:5], v[229:230], s[16:17], v[136:137]
	v_add_f64_e32 v[40:41], v[92:93], v[40:41]
	v_add_f64_e32 v[92:93], v[106:107], v[108:109]
	v_fma_f64 v[108:109], v[231:232], s[4:5], -v[126:127]
	v_add_f64_e32 v[56:57], v[130:131], v[56:57]
	v_add_f64_e32 v[58:59], v[132:133], v[58:59]
	;; [unrolled: 1-line block ×3, first 2 shown]
	v_fma_f64 v[106:107], v[229:230], s[10:11], v[114:115]
	v_fma_f64 v[44:45], v[231:232], s[12:13], v[82:83]
	v_fma_f64 v[82:83], v[231:232], s[12:13], -v[82:83]
	v_add_f64_e32 v[76:77], v[76:77], v[78:79]
	v_add_f64_e32 v[78:79], v[34:35], v[122:123]
	;; [unrolled: 1-line block ×23, first 2 shown]
	v_mul_u32_u24_e32 v4, 0xd0, v125
	s_delay_alu instid0(VALU_DEP_1)
	v_add3_u32 v4, 0, v4, v124
	v_add_f64_e32 v[52:53], v[90:91], v[116:117]
	ds_store_b128 v4, v[8:11]
	ds_store_b128 v4, v[12:15] offset:16
	ds_store_b128 v4, v[36:39] offset:32
	;; [unrolled: 1-line block ×12, first 2 shown]
.LBB0_20:
	s_wait_alu 0xfffe
	s_or_b32 exec_lo, exec_lo, s1
	global_wb scope:SCOPE_SE
	s_wait_dscnt 0x0
	s_barrier_signal -1
	s_barrier_wait -1
	global_inv scope:SCOPE_SE
	ds_load_b128 v[20:23], v255
	ds_load_b128 v[16:19], v240 offset:624
	ds_load_b128 v[44:47], v240 offset:2912
	;; [unrolled: 1-line block ×11, first 2 shown]
	v_cmp_gt_u32_e64 s0, 26, v239
	s_delay_alu instid0(VALU_DEP_1)
	s_and_saveexec_b32 s1, s0
	s_cbranch_execz .LBB0_22
; %bb.21:
	ds_load_b128 v[102:105], v240 offset:2496
	ds_load_b128 v[8:11], v240 offset:5408
	;; [unrolled: 1-line block ×3, first 2 shown]
.LBB0_22:
	s_wait_alu 0xfffe
	s_or_b32 exec_lo, exec_lo, s1
	v_and_b32_e32 v4, 0xff, v239
	v_add_nc_u16 v5, v239, 0x4e
	v_and_b32_e32 v6, 0xff, v125
	v_add_nc_u16 v7, v239, 0x75
	s_mov_b32 s4, 0xe8584caa
	v_mul_lo_u16 v4, 0x4f, v4
	v_and_b32_e32 v66, 0xff, v5
	v_mul_lo_u16 v6, 0x4f, v6
	s_mov_b32 s5, 0xbfebb67a
	s_mov_b32 s11, 0x3febb67a
	v_lshrrev_b16 v114, 10, v4
	v_and_b32_e32 v4, 0xff, v7
	v_mul_lo_u16 v66, 0x4f, v66
	v_lshrrev_b16 v115, 10, v6
	s_wait_alu 0xfffe
	s_mov_b32 s10, s4
	v_mul_lo_u16 v6, v114, 13
	v_mul_lo_u16 v4, 0x4f, v4
	v_lshrrev_b16 v116, 10, v66
	v_mul_lo_u16 v66, v115, 13
	s_delay_alu instid0(VALU_DEP_4) | instskip(NEXT) | instid1(VALU_DEP_4)
	v_sub_nc_u16 v6, v239, v6
	v_lshrrev_b16 v117, 10, v4
	s_delay_alu instid0(VALU_DEP_4) | instskip(NEXT) | instid1(VALU_DEP_4)
	v_mul_lo_u16 v4, v116, 13
	v_sub_nc_u16 v66, v125, v66
	s_delay_alu instid0(VALU_DEP_4) | instskip(NEXT) | instid1(VALU_DEP_4)
	v_and_b32_e32 v118, 0xff, v6
	v_mul_lo_u16 v6, v117, 13
	s_delay_alu instid0(VALU_DEP_4) | instskip(NEXT) | instid1(VALU_DEP_4)
	v_sub_nc_u16 v4, v5, v4
	v_and_b32_e32 v119, 0xff, v66
	s_delay_alu instid0(VALU_DEP_4) | instskip(NEXT) | instid1(VALU_DEP_4)
	v_lshlrev_b32_e32 v5, 5, v118
	v_sub_nc_u16 v6, v7, v6
	s_delay_alu instid0(VALU_DEP_4) | instskip(NEXT) | instid1(VALU_DEP_4)
	v_and_b32_e32 v120, 0xff, v4
	v_lshlrev_b32_e32 v4, 5, v119
	s_clause 0x1
	global_load_b128 v[70:73], v5, s[8:9]
	global_load_b128 v[74:77], v5, s[8:9] offset:16
	v_and_b32_e32 v121, 0xff, v6
	v_lshlrev_b32_e32 v5, 5, v120
	s_clause 0x1
	global_load_b128 v[78:81], v4, s[8:9]
	global_load_b128 v[82:85], v4, s[8:9] offset:16
	v_lshlrev_b32_e32 v4, 5, v121
	s_clause 0x3
	global_load_b128 v[86:89], v5, s[8:9]
	global_load_b128 v[90:93], v5, s[8:9] offset:16
	global_load_b128 v[94:97], v4, s[8:9]
	global_load_b128 v[98:101], v4, s[8:9] offset:16
	global_wb scope:SCOPE_SE
	s_wait_loadcnt_dscnt 0x0
	s_barrier_signal -1
	s_barrier_wait -1
	global_inv scope:SCOPE_SE
	v_mul_f64_e32 v[4:5], v[46:47], v[72:73]
	v_mul_f64_e32 v[6:7], v[54:55], v[76:77]
	;; [unrolled: 1-line block ×16, first 2 shown]
	v_fma_f64 v[4:5], v[44:45], v[70:71], v[4:5]
	v_fma_f64 v[6:7], v[52:53], v[74:75], v[6:7]
	v_fma_f64 v[44:45], v[46:47], v[70:71], -v[66:67]
	v_fma_f64 v[46:47], v[54:55], v[74:75], -v[68:69]
	v_fma_f64 v[28:29], v[28:29], v[78:79], v[72:73]
	v_fma_f64 v[36:37], v[36:37], v[82:83], v[76:77]
	v_fma_f64 v[30:31], v[30:31], v[78:79], -v[80:81]
	v_fma_f64 v[38:39], v[38:39], v[82:83], -v[84:85]
	;; [unrolled: 4-line block ×4, first 2 shown]
	v_add_f64_e32 v[78:79], v[20:21], v[4:5]
	v_add_f64_e32 v[56:57], v[4:5], v[6:7]
	v_add_f64_e64 v[4:5], v[4:5], -v[6:7]
	v_add_f64_e32 v[58:59], v[44:45], v[46:47]
	v_add_f64_e64 v[80:81], v[44:45], -v[46:47]
	v_add_f64_e32 v[66:67], v[28:29], v[36:37]
	v_add_f64_e32 v[44:45], v[22:23], v[44:45]
	;; [unrolled: 1-line block ×7, first 2 shown]
	v_add_f64_e64 v[94:95], v[30:31], -v[38:39]
	v_add_f64_e32 v[74:75], v[32:33], v[40:41]
	v_add_f64_e64 v[96:97], v[28:29], -v[36:37]
	v_add_f64_e32 v[76:77], v[34:35], v[42:43]
	v_add_f64_e32 v[90:91], v[0:1], v[32:33]
	;; [unrolled: 1-line block ×5, first 2 shown]
	v_add_f64_e64 v[50:51], v[50:51], -v[54:55]
	v_add_f64_e64 v[98:99], v[48:49], -v[52:53]
	;; [unrolled: 1-line block ×4, first 2 shown]
	v_fma_f64 v[56:57], v[56:57], -0.5, v[20:21]
	v_fma_f64 v[58:59], v[58:59], -0.5, v[22:23]
	;; [unrolled: 1-line block ×4, first 2 shown]
	v_add_f64_e32 v[16:17], v[82:83], v[36:37]
	v_fma_f64 v[70:71], v[70:71], -0.5, v[24:25]
	v_add_f64_e32 v[18:19], v[84:85], v[38:39]
	v_fma_f64 v[72:73], v[72:73], -0.5, v[26:27]
	v_fma_f64 v[74:75], v[74:75], -0.5, v[0:1]
	v_add_f64_e32 v[0:1], v[78:79], v[6:7]
	v_fma_f64 v[76:77], v[76:77], -0.5, v[2:3]
	v_add_f64_e32 v[2:3], v[44:45], v[46:47]
	v_add_f64_e32 v[24:25], v[90:91], v[40:41]
	;; [unrolled: 1-line block ×5, first 2 shown]
	v_and_b32_e32 v6, 0xffff, v116
	v_and_b32_e32 v7, 0xffff, v117
	s_delay_alu instid0(VALU_DEP_2) | instskip(NEXT) | instid1(VALU_DEP_2)
	v_mad_u32_u24 v6, 0x270, v6, 0
	v_mad_u32_u24 v7, 0x270, v7, 0
	v_fma_f64 v[28:29], v[80:81], s[4:5], v[56:57]
	s_wait_alu 0xfffe
	v_fma_f64 v[32:33], v[80:81], s[10:11], v[56:57]
	v_fma_f64 v[30:31], v[4:5], s[10:11], v[58:59]
	;; [unrolled: 1-line block ×15, first 2 shown]
	v_and_b32_e32 v4, 0xffff, v114
	v_and_b32_e32 v5, 0xffff, v115
	v_lshlrev_b32_e32 v66, 4, v118
	v_lshlrev_b32_e32 v67, 4, v119
	s_delay_alu instid0(VALU_DEP_4) | instskip(NEXT) | instid1(VALU_DEP_4)
	v_mad_u32_u24 v4, 0x270, v4, 0
	v_mad_u32_u24 v5, 0x270, v5, 0
	s_delay_alu instid0(VALU_DEP_2) | instskip(NEXT) | instid1(VALU_DEP_2)
	v_add3_u32 v4, v4, v66, v124
	v_add3_u32 v5, v5, v67, v124
	v_lshlrev_b32_e32 v66, 4, v120
	v_lshlrev_b32_e32 v67, 4, v121
	s_delay_alu instid0(VALU_DEP_2) | instskip(NEXT) | instid1(VALU_DEP_2)
	v_add3_u32 v6, v6, v66, v124
	v_add3_u32 v7, v7, v67, v124
	ds_store_b128 v4, v[0:3]
	ds_store_b128 v4, v[28:31] offset:208
	ds_store_b128 v4, v[32:35] offset:416
	ds_store_b128 v5, v[16:19]
	ds_store_b128 v5, v[36:39] offset:208
	ds_store_b128 v5, v[40:43] offset:416
	;; [unrolled: 3-line block ×4, first 2 shown]
	s_and_saveexec_b32 s1, s0
	s_cbranch_execz .LBB0_24
; %bb.23:
	v_add_nc_u16 v0, v239, 0x9c
	s_delay_alu instid0(VALU_DEP_1) | instskip(NEXT) | instid1(VALU_DEP_1)
	v_and_b32_e32 v1, 0xff, v0
	v_mul_lo_u16 v1, 0x4f, v1
	s_delay_alu instid0(VALU_DEP_1) | instskip(NEXT) | instid1(VALU_DEP_1)
	v_lshrrev_b16 v20, 10, v1
	v_mul_lo_u16 v1, v20, 13
	s_delay_alu instid0(VALU_DEP_1) | instskip(NEXT) | instid1(VALU_DEP_1)
	v_sub_nc_u16 v0, v0, v1
	v_and_b32_e32 v21, 0xff, v0
	s_delay_alu instid0(VALU_DEP_1)
	v_lshlrev_b32_e32 v4, 5, v21
	s_clause 0x1
	global_load_b128 v[0:3], v4, s[8:9]
	global_load_b128 v[16:19], v4, s[8:9] offset:16
	s_wait_loadcnt 0x1
	v_mul_f64_e32 v[4:5], v[8:9], v[2:3]
	s_wait_loadcnt 0x0
	v_mul_f64_e32 v[6:7], v[12:13], v[18:19]
	v_mul_f64_e32 v[2:3], v[10:11], v[2:3]
	;; [unrolled: 1-line block ×3, first 2 shown]
	s_delay_alu instid0(VALU_DEP_4) | instskip(NEXT) | instid1(VALU_DEP_4)
	v_fma_f64 v[4:5], v[10:11], v[0:1], -v[4:5]
	v_fma_f64 v[6:7], v[14:15], v[16:17], -v[6:7]
	s_delay_alu instid0(VALU_DEP_4) | instskip(NEXT) | instid1(VALU_DEP_4)
	v_fma_f64 v[0:1], v[8:9], v[0:1], v[2:3]
	v_fma_f64 v[8:9], v[12:13], v[16:17], v[18:19]
	s_delay_alu instid0(VALU_DEP_4) | instskip(NEXT) | instid1(VALU_DEP_4)
	v_add_f64_e32 v[14:15], v[104:105], v[4:5]
	v_add_f64_e32 v[2:3], v[4:5], v[6:7]
	v_add_f64_e64 v[4:5], v[4:5], -v[6:7]
	s_delay_alu instid0(VALU_DEP_4)
	v_add_f64_e32 v[10:11], v[0:1], v[8:9]
	v_add_f64_e64 v[12:13], v[0:1], -v[8:9]
	v_add_f64_e32 v[0:1], v[102:103], v[0:1]
	v_fma_f64 v[16:17], v[2:3], -0.5, v[104:105]
	v_add_f64_e32 v[2:3], v[14:15], v[6:7]
	v_fma_f64 v[18:19], v[10:11], -0.5, v[102:103]
	s_delay_alu instid0(VALU_DEP_4) | instskip(NEXT) | instid1(VALU_DEP_4)
	v_add_f64_e32 v[0:1], v[0:1], v[8:9]
	v_fma_f64 v[10:11], v[12:13], s[10:11], v[16:17]
	v_fma_f64 v[6:7], v[12:13], s[4:5], v[16:17]
	s_delay_alu instid0(VALU_DEP_4) | instskip(SKIP_3) | instid1(VALU_DEP_2)
	v_fma_f64 v[8:9], v[4:5], s[4:5], v[18:19]
	v_fma_f64 v[4:5], v[4:5], s[10:11], v[18:19]
	v_and_b32_e32 v12, 0xffff, v20
	v_lshlrev_b32_e32 v13, 4, v21
	v_mad_u32_u24 v12, 0x270, v12, 0
	s_delay_alu instid0(VALU_DEP_1)
	v_add3_u32 v12, v12, v13, v124
	ds_store_b128 v12, v[0:3]
	ds_store_b128 v12, v[8:11] offset:208
	ds_store_b128 v12, v[4:7] offset:416
.LBB0_24:
	s_wait_alu 0xfffe
	s_or_b32 exec_lo, exec_lo, s1
	v_mul_u32_u24_e32 v0, 6, v239
	global_wb scope:SCOPE_SE
	s_wait_dscnt 0x0
	s_barrier_signal -1
	s_barrier_wait -1
	global_inv scope:SCOPE_SE
	v_lshlrev_b32_e32 v20, 4, v0
	s_mov_b32 s0, 0x37e14327
	s_mov_b32 s4, 0x36b3c0b5
	;; [unrolled: 1-line block ×4, first 2 shown]
	s_clause 0x5
	global_load_b128 v[0:3], v20, s[8:9] offset:416
	global_load_b128 v[4:7], v20, s[8:9] offset:432
	;; [unrolled: 1-line block ×6, first 2 shown]
	ds_load_b128 v[24:27], v240 offset:1248
	ds_load_b128 v[28:31], v240 offset:2496
	;; [unrolled: 1-line block ×12, first 2 shown]
	s_mov_b32 s1, 0x3fe948f6
	s_mov_b32 s5, 0x3fac98ee
	;; [unrolled: 1-line block ×9, first 2 shown]
	s_wait_alu 0xfffe
	s_mov_b32 s18, s16
	s_wait_loadcnt_dscnt 0x50b
	v_mul_f64_e32 v[66:67], v[26:27], v[2:3]
	v_mul_f64_e32 v[68:69], v[24:25], v[2:3]
	s_wait_loadcnt_dscnt 0x40a
	v_mul_f64_e32 v[82:83], v[30:31], v[6:7]
	v_mul_f64_e32 v[84:85], v[28:29], v[6:7]
	;; [unrolled: 3-line block ×4, first 2 shown]
	s_wait_dscnt 0x7
	v_mul_f64_e32 v[94:95], v[42:43], v[2:3]
	v_mul_f64_e32 v[2:3], v[40:41], v[2:3]
	s_wait_dscnt 0x6
	v_mul_f64_e32 v[96:97], v[46:47], v[6:7]
	v_mul_f64_e32 v[6:7], v[44:45], v[6:7]
	;; [unrolled: 3-line block ×4, first 2 shown]
	s_wait_loadcnt_dscnt 0x102
	v_mul_f64_e32 v[102:103], v[72:73], v[18:19]
	v_mul_f64_e32 v[104:105], v[70:71], v[18:19]
	s_wait_loadcnt 0x0
	v_mul_f64_e32 v[106:107], v[58:59], v[22:23]
	v_mul_f64_e32 v[108:109], v[56:57], v[22:23]
	v_fma_f64 v[24:25], v[24:25], v[0:1], v[66:67]
	v_fma_f64 v[26:27], v[26:27], v[0:1], -v[68:69]
	v_fma_f64 v[28:29], v[28:29], v[4:5], v[82:83]
	v_fma_f64 v[30:31], v[30:31], v[4:5], -v[84:85]
	;; [unrolled: 2-line block ×4, first 2 shown]
	s_wait_dscnt 0x1
	v_mul_f64_e32 v[66:67], v[76:77], v[18:19]
	v_mul_f64_e32 v[18:19], v[74:75], v[18:19]
	s_wait_dscnt 0x0
	v_mul_f64_e32 v[68:69], v[80:81], v[22:23]
	v_mul_f64_e32 v[22:23], v[78:79], v[22:23]
	v_fma_f64 v[40:41], v[40:41], v[0:1], v[94:95]
	v_fma_f64 v[0:1], v[42:43], v[0:1], -v[2:3]
	v_fma_f64 v[2:3], v[44:45], v[4:5], v[96:97]
	v_fma_f64 v[4:5], v[46:47], v[4:5], -v[6:7]
	;; [unrolled: 2-line block ×6, first 2 shown]
	v_add_f64_e32 v[48:49], v[24:25], v[32:33]
	v_add_f64_e32 v[50:51], v[26:27], v[34:35]
	;; [unrolled: 1-line block ×4, first 2 shown]
	v_fma_f64 v[56:57], v[74:75], v[16:17], v[66:67]
	v_fma_f64 v[16:17], v[76:77], v[16:17], -v[18:19]
	v_fma_f64 v[18:19], v[78:79], v[20:21], v[68:69]
	v_fma_f64 v[20:21], v[80:81], v[20:21], -v[22:23]
	v_add_f64_e64 v[28:29], v[28:29], -v[36:37]
	v_add_f64_e64 v[30:31], v[30:31], -v[38:39]
	v_add_f64_e64 v[24:25], v[24:25], -v[32:33]
	v_add_f64_e64 v[26:27], v[26:27], -v[34:35]
	v_add_f64_e32 v[22:23], v[40:41], v[6:7]
	v_add_f64_e32 v[58:59], v[0:1], v[8:9]
	;; [unrolled: 1-line block ×4, first 2 shown]
	v_add_f64_e64 v[10:11], v[2:3], -v[10:11]
	v_add_f64_e64 v[12:13], v[4:5], -v[12:13]
	v_add_f64_e32 v[70:71], v[14:15], v[44:45]
	v_add_f64_e32 v[72:73], v[42:43], v[46:47]
	v_add_f64_e64 v[14:15], v[44:45], -v[14:15]
	v_add_f64_e64 v[36:37], v[46:47], -v[42:43]
	;; [unrolled: 1-line block ×3, first 2 shown]
	v_add_f64_e32 v[32:33], v[52:53], v[48:49]
	v_add_f64_e32 v[34:35], v[54:55], v[50:51]
	;; [unrolled: 1-line block ×4, first 2 shown]
	v_add_f64_e64 v[18:19], v[18:19], -v[56:57]
	v_add_f64_e64 v[16:17], v[20:21], -v[16:17]
	;; [unrolled: 1-line block ×5, first 2 shown]
	ds_load_b128 v[0:3], v255
	ds_load_b128 v[4:7], v240 offset:624
	v_add_f64_e32 v[40:41], v[66:67], v[22:23]
	v_add_f64_e32 v[44:45], v[68:69], v[58:59]
	v_add_f64_e64 v[46:47], v[48:49], -v[70:71]
	v_add_f64_e64 v[56:57], v[50:51], -v[72:73]
	v_add_f64_e64 v[74:75], v[70:71], -v[52:53]
	v_add_f64_e64 v[76:77], v[72:73], -v[54:55]
	v_add_f64_e64 v[78:79], v[14:15], -v[28:29]
	v_add_f64_e64 v[80:81], v[36:37], -v[30:31]
	v_add_f64_e64 v[92:93], v[12:13], -v[8:9]
	v_add_f64_e64 v[48:49], v[52:53], -v[48:49]
	v_add_f64_e64 v[50:51], v[54:55], -v[50:51]
	v_add_f64_e32 v[28:29], v[14:15], v[28:29]
	v_add_f64_e32 v[30:31], v[36:37], v[30:31]
	v_add_f64_e64 v[14:15], v[24:25], -v[14:15]
	v_add_f64_e64 v[36:37], v[26:27], -v[36:37]
	v_add_f64_e32 v[32:33], v[70:71], v[32:33]
	v_add_f64_e32 v[34:35], v[72:73], v[34:35]
	v_add_f64_e64 v[70:71], v[22:23], -v[38:39]
	v_add_f64_e64 v[72:73], v[58:59], -v[42:43]
	;; [unrolled: 1-line block ×5, first 2 shown]
	v_add_f64_e32 v[10:11], v[18:19], v[10:11]
	v_add_f64_e32 v[12:13], v[16:17], v[12:13]
	v_mul_f64_e32 v[94:95], s[12:13], v[82:83]
	v_add_f64_e32 v[40:41], v[38:39], v[40:41]
	v_add_f64_e32 v[44:45], v[42:43], v[44:45]
	v_add_f64_e64 v[42:43], v[42:43], -v[68:69]
	v_add_f64_e64 v[38:39], v[38:39], -v[66:67]
	v_mul_f64_e32 v[46:47], s[0:1], v[46:47]
	v_mul_f64_e32 v[52:53], s[0:1], v[56:57]
	;; [unrolled: 1-line block ×7, first 2 shown]
	v_add_f64_e64 v[58:59], v[68:69], -v[58:59]
	v_add_f64_e64 v[22:23], v[66:67], -v[22:23]
	;; [unrolled: 1-line block ×4, first 2 shown]
	v_mul_f64_e32 v[100:101], s[12:13], v[92:93]
	v_add_f64_e32 v[24:25], v[28:29], v[24:25]
	v_add_f64_e32 v[26:27], v[30:31], v[26:27]
	s_wait_dscnt 0x1
	v_add_f64_e32 v[0:1], v[0:1], v[32:33]
	v_add_f64_e32 v[2:3], v[2:3], v[34:35]
	v_mul_f64_e32 v[70:71], s[0:1], v[70:71]
	v_mul_f64_e32 v[72:73], s[0:1], v[72:73]
	;; [unrolled: 1-line block ×3, first 2 shown]
	s_mov_b32 s0, 0x5476071b
	s_mov_b32 s1, 0x3fe77f67
	v_mul_f64_e32 v[88:89], s[10:11], v[88:89]
	v_mul_f64_e32 v[98:99], s[12:13], v[90:91]
	v_add_f64_e32 v[10:11], v[10:11], v[20:21]
	s_wait_dscnt 0x0
	v_add_f64_e32 v[4:5], v[4:5], v[40:41]
	v_add_f64_e32 v[6:7], v[6:7], v[44:45]
	v_mul_f64_e32 v[68:69], s[4:5], v[42:43]
	v_mul_f64_e32 v[66:67], s[4:5], v[38:39]
	v_add_f64_e32 v[8:9], v[12:13], v[8:9]
	v_fma_f64 v[12:13], v[74:75], s[4:5], v[46:47]
	v_fma_f64 v[20:21], v[76:77], s[4:5], v[52:53]
	s_wait_alu 0xfffe
	v_fma_f64 v[28:29], v[48:49], s[0:1], -v[54:55]
	v_fma_f64 v[30:31], v[50:51], s[0:1], -v[56:57]
	v_fma_f64 v[54:55], v[14:15], s[16:17], v[78:79]
	v_fma_f64 v[56:57], v[36:37], s[16:17], v[80:81]
	v_fma_f64 v[74:75], v[82:83], s[12:13], -v[78:79]
	v_fma_f64 v[76:77], v[84:85], s[12:13], -v[80:81]
	;; [unrolled: 1-line block ×4, first 2 shown]
	s_mov_b32 s11, 0xbfe77f67
	s_mov_b32 s10, s0
	s_wait_alu 0xfffe
	v_fma_f64 v[46:47], v[48:49], s[10:11], -v[46:47]
	v_fma_f64 v[48:49], v[50:51], s[10:11], -v[52:53]
	v_fma_f64 v[32:33], v[32:33], s[14:15], v[0:1]
	v_fma_f64 v[34:35], v[34:35], s[14:15], v[2:3]
	;; [unrolled: 1-line block ×4, first 2 shown]
	v_fma_f64 v[78:79], v[90:91], s[12:13], -v[86:87]
	v_fma_f64 v[72:73], v[58:59], s[10:11], -v[72:73]
	;; [unrolled: 1-line block ×3, first 2 shown]
	v_fma_f64 v[50:51], v[18:19], s[16:17], v[86:87]
	v_fma_f64 v[52:53], v[16:17], s[16:17], v[88:89]
	v_fma_f64 v[80:81], v[92:93], s[12:13], -v[88:89]
	v_fma_f64 v[18:19], v[18:19], s[18:19], -v[98:99]
	v_fma_f64 v[44:45], v[44:45], s[14:15], v[6:7]
	v_fma_f64 v[58:59], v[58:59], s[0:1], -v[68:69]
	v_fma_f64 v[22:23], v[22:23], s[0:1], -v[66:67]
	s_mov_b32 s0, 0x37c3f68c
	s_mov_b32 s1, 0xbfdc38aa
	v_fma_f64 v[16:17], v[16:17], s[18:19], -v[100:101]
	v_fma_f64 v[40:41], v[40:41], s[14:15], v[4:5]
	s_wait_alu 0xfffe
	v_fma_f64 v[54:55], v[24:25], s[0:1], v[54:55]
	v_fma_f64 v[56:57], v[26:27], s[0:1], v[56:57]
	;; [unrolled: 1-line block ×6, first 2 shown]
	v_add_f64_e32 v[36:37], v[12:13], v[32:33]
	v_add_f64_e32 v[76:77], v[20:21], v[34:35]
	;; [unrolled: 1-line block ×6, first 2 shown]
	v_fma_f64 v[48:49], v[10:11], s[0:1], v[78:79]
	v_fma_f64 v[82:83], v[10:11], s[0:1], v[50:51]
	;; [unrolled: 1-line block ×5, first 2 shown]
	v_add_f64_e32 v[86:87], v[42:43], v[44:45]
	v_add_f64_e32 v[58:59], v[58:59], v[44:45]
	;; [unrolled: 1-line block ×3, first 2 shown]
	v_fma_f64 v[80:81], v[8:9], s[0:1], v[16:17]
	v_add_f64_e32 v[88:89], v[22:23], v[40:41]
	v_add_f64_e32 v[84:85], v[38:39], v[40:41]
	;; [unrolled: 1-line block ×4, first 2 shown]
	v_add_f64_e64 v[10:11], v[76:77], -v[54:55]
	v_add_f64_e64 v[16:17], v[20:21], -v[68:69]
	v_add_f64_e32 v[18:19], v[66:67], v[28:29]
	v_add_f64_e64 v[22:23], v[28:29], -v[66:67]
	v_add_f64_e64 v[28:29], v[36:37], -v[56:57]
	scratch_load_b64 v[56:57], off, off th:TH_LOAD_LU ; 8-byte Folded Reload
	v_add_f64_e32 v[12:13], v[24:25], v[26:27]
	v_add_f64_e64 v[14:15], v[46:47], -v[74:75]
	v_add_f64_e64 v[24:25], v[26:27], -v[24:25]
	v_add_f64_e32 v[26:27], v[74:75], v[46:47]
	v_add_f64_e32 v[20:21], v[68:69], v[20:21]
	;; [unrolled: 1-line block ×3, first 2 shown]
	v_add_f64_e64 v[34:35], v[86:87], -v[82:83]
	v_add_f64_e32 v[42:43], v[48:49], v[58:59]
	v_add_f64_e64 v[46:47], v[58:59], -v[48:49]
	scratch_load_b64 v[58:59], off, off offset:96 th:TH_LOAD_LU ; 8-byte Folded Reload
	v_add_f64_e64 v[38:39], v[72:73], -v[78:79]
	v_add_f64_e32 v[54:55], v[82:83], v[86:87]
	v_add_f64_e64 v[40:41], v[88:89], -v[50:51]
	v_add_f64_e32 v[32:33], v[52:53], v[84:85]
	v_add_f64_e32 v[36:37], v[80:81], v[70:71]
	;; [unrolled: 1-line block ×3, first 2 shown]
	v_add_f64_e64 v[48:49], v[70:71], -v[80:81]
	v_add_f64_e32 v[50:51], v[78:79], v[72:73]
	v_add_f64_e64 v[52:53], v[84:85], -v[52:53]
	global_wb scope:SCOPE_SE
	s_wait_loadcnt 0x0
	s_barrier_signal -1
	s_barrier_wait -1
	global_inv scope:SCOPE_SE
	ds_store_b128 v240, v[0:3]
	ds_store_b128 v240, v[8:11] offset:624
	ds_store_b128 v240, v[12:15] offset:1248
	;; [unrolled: 1-line block ×13, first 2 shown]
	global_wb scope:SCOPE_SE
	s_wait_dscnt 0x0
	s_barrier_signal -1
	s_barrier_wait -1
	global_inv scope:SCOPE_SE
	v_add_co_u32 v56, s0, s8, v56
	s_wait_alu 0xf1ff
	v_add_co_ci_u32_e64 v57, s0, s9, v57, s0
	v_add_co_u32 v58, s0, s8, v58
	s_wait_alu 0xf1ff
	v_add_co_ci_u32_e64 v59, s0, s9, v59, s0
	s_clause 0x6
	global_load_b128 v[0:3], v[56:57], off offset:4160
	global_load_b128 v[4:7], v[58:59], off offset:4784
	;; [unrolled: 1-line block ×7, first 2 shown]
	ds_load_b128 v[28:31], v240 offset:4368
	ds_load_b128 v[32:35], v240 offset:4992
	ds_load_b128 v[36:39], v240 offset:5616
	ds_load_b128 v[40:43], v240 offset:6240
	ds_load_b128 v[44:47], v240 offset:6864
	ds_load_b128 v[48:51], v240 offset:7488
	ds_load_b128 v[52:55], v240 offset:8112
	ds_load_b128 v[56:59], v240 offset:3744
	s_wait_loadcnt_dscnt 0x607
	v_mul_f64_e32 v[66:67], v[30:31], v[2:3]
	s_wait_loadcnt_dscnt 0x506
	v_mul_f64_e32 v[68:69], v[34:35], v[6:7]
	;; [unrolled: 2-line block ×7, first 2 shown]
	v_mul_f64_e32 v[2:3], v[28:29], v[2:3]
	v_mul_f64_e32 v[6:7], v[32:33], v[6:7]
	;; [unrolled: 1-line block ×7, first 2 shown]
	v_fma_f64 v[28:29], v[28:29], v[0:1], v[66:67]
	v_fma_f64 v[32:33], v[32:33], v[4:5], v[68:69]
	;; [unrolled: 1-line block ×7, first 2 shown]
	v_fma_f64 v[30:31], v[30:31], v[0:1], -v[2:3]
	v_fma_f64 v[34:35], v[34:35], v[4:5], -v[6:7]
	;; [unrolled: 1-line block ×6, first 2 shown]
	ds_load_b128 v[0:3], v255
	ds_load_b128 v[4:7], v240 offset:624
	ds_load_b128 v[8:11], v240 offset:1248
	;; [unrolled: 1-line block ×5, first 2 shown]
	v_fma_f64 v[54:55], v[54:55], v[24:25], -v[26:27]
	s_wait_dscnt 0x5
	v_add_f64_e64 v[24:25], v[0:1], -v[28:29]
	s_wait_dscnt 0x4
	v_add_f64_e64 v[28:29], v[4:5], -v[32:33]
	;; [unrolled: 2-line block ×6, first 2 shown]
	v_add_f64_e64 v[48:49], v[56:57], -v[52:53]
	v_add_f64_e64 v[26:27], v[2:3], -v[30:31]
	;; [unrolled: 1-line block ×8, first 2 shown]
	v_fma_f64 v[0:1], v[0:1], 2.0, -v[24:25]
	v_fma_f64 v[4:5], v[4:5], 2.0, -v[28:29]
	;; [unrolled: 1-line block ×7, first 2 shown]
	scratch_load_b32 v56, off, off offset:88 th:TH_LOAD_LU ; 4-byte Folded Reload
	v_fma_f64 v[2:3], v[2:3], 2.0, -v[26:27]
	v_fma_f64 v[6:7], v[6:7], 2.0, -v[30:31]
	;; [unrolled: 1-line block ×7, first 2 shown]
	v_lshl_add_u32 v57, v239, 4, 0
	global_wb scope:SCOPE_SE
	s_wait_loadcnt 0x0
	s_barrier_signal -1
	s_barrier_wait -1
	global_inv scope:SCOPE_SE
	v_lshl_add_u32 v56, v56, 4, v57
	ds_store_b128 v56, v[28:31] offset:4992
	ds_store_b128 v56, v[32:35] offset:5616
	ds_store_b128 v56, v[36:39] offset:6240
	ds_store_b128 v56, v[40:43] offset:6864
	ds_store_b128 v56, v[44:47] offset:7488
	ds_store_b128 v56, v[48:51] offset:8112
	ds_store_b128 v240, v[0:3]
	ds_store_b128 v240, v[4:7] offset:624
	ds_store_b128 v240, v[8:11] offset:1248
	;; [unrolled: 1-line block ×7, first 2 shown]
	global_wb scope:SCOPE_SE
	s_wait_dscnt 0x0
	s_barrier_signal -1
	s_barrier_wait -1
	global_inv scope:SCOPE_SE
	s_and_saveexec_b32 s0, vcc_lo
	s_cbranch_execz .LBB0_26
; %bb.25:
	scratch_load_b32 v4, off, off offset:92 th:TH_LOAD_LU ; 4-byte Folded Reload
	v_mul_lo_u32 v2, s3, v64
	v_mul_lo_u32 v3, s2, v65
	v_mad_co_u64_u32 v[0:1], null, s2, v64, 0
	v_mov_b32_e32 v240, 0
	v_lshlrev_b64_e32 v[8:9], 4, v[60:61]
	v_add_nc_u32_e32 v10, 39, v239
	v_add_nc_u32_e32 v12, 0x4e, v239
	s_delay_alu instid0(VALU_DEP_4)
	v_dual_mov_b32 v23, v240 :: v_dual_add_nc_u32 v22, 0x75, v239
	v_add3_u32 v1, v1, v3, v2
	v_lshlrev_b64_e32 v[14:15], 4, v[239:240]
	v_mov_b32_e32 v11, v240
	v_mov_b32_e32 v13, v240
	v_lshlrev_b64_e32 v[22:23], 4, v[22:23]
	v_lshlrev_b64_e32 v[16:17], 4, v[0:1]
	v_dual_mov_b32 v25, v240 :: v_dual_add_nc_u32 v24, 0x9c, v239
	s_delay_alu instid0(VALU_DEP_2) | instskip(SKIP_1) | instid1(VALU_DEP_3)
	v_add_co_u32 v18, vcc_lo, s6, v16
	s_wait_alu 0xfffd
	v_add_co_ci_u32_e32 v19, vcc_lo, s7, v17, vcc_lo
	v_lshlrev_b64_e32 v[16:17], 4, v[10:11]
	s_delay_alu instid0(VALU_DEP_3) | instskip(SKIP_1) | instid1(VALU_DEP_3)
	v_add_co_u32 v36, vcc_lo, v18, v8
	s_wait_alu 0xfffd
	v_add_co_ci_u32_e32 v37, vcc_lo, v19, v9, vcc_lo
	v_lshlrev_b64_e32 v[18:19], 4, v[12:13]
	s_delay_alu instid0(VALU_DEP_3) | instskip(SKIP_1) | instid1(VALU_DEP_3)
	v_add_co_u32 v20, vcc_lo, v36, v14
	s_wait_alu 0xfffd
	v_add_co_ci_u32_e32 v21, vcc_lo, v37, v15, vcc_lo
	v_add_co_u32 v16, vcc_lo, v36, v16
	s_wait_alu 0xfffd
	v_add_co_ci_u32_e32 v17, vcc_lo, v37, v17, vcc_lo
	;; [unrolled: 3-line block ×4, first 2 shown]
	s_wait_loadcnt 0x0
	v_lshl_add_u32 v34, v239, 4, v4
	ds_load_b128 v[0:3], v34
	ds_load_b128 v[4:7], v34 offset:624
	ds_load_b128 v[8:11], v34 offset:1248
	;; [unrolled: 1-line block ×3, first 2 shown]
	s_wait_dscnt 0x3
	global_store_b128 v[20:21], v[0:3], off
	s_wait_dscnt 0x2
	global_store_b128 v[16:17], v[4:7], off
	;; [unrolled: 2-line block ×4, first 2 shown]
	v_lshlrev_b64_e32 v[0:1], 4, v[24:25]
	v_dual_mov_b32 v9, v240 :: v_dual_add_nc_u32 v8, 0xc3, v239
	v_dual_mov_b32 v11, v240 :: v_dual_add_nc_u32 v10, 0xea, v239
	;; [unrolled: 1-line block ×3, first 2 shown]
	s_delay_alu instid0(VALU_DEP_4)
	v_add_co_u32 v16, vcc_lo, v36, v0
	s_wait_alu 0xfffd
	v_add_co_ci_u32_e32 v17, vcc_lo, v37, v1, vcc_lo
	ds_load_b128 v[0:3], v34 offset:2496
	ds_load_b128 v[4:7], v34 offset:3120
	v_lshlrev_b64_e32 v[18:19], 4, v[8:9]
	v_lshlrev_b64_e32 v[20:21], 4, v[10:11]
	ds_load_b128 v[8:11], v34 offset:3744
	ds_load_b128 v[12:15], v34 offset:4368
	v_lshlrev_b64_e32 v[22:23], 4, v[22:23]
	v_add_nc_u32_e32 v24, 0x138, v239
	v_add_co_u32 v18, vcc_lo, v36, v18
	s_wait_alu 0xfffd
	v_add_co_ci_u32_e32 v19, vcc_lo, v37, v19, vcc_lo
	v_add_co_u32 v20, vcc_lo, v36, v20
	s_wait_alu 0xfffd
	v_add_co_ci_u32_e32 v21, vcc_lo, v37, v21, vcc_lo
	;; [unrolled: 3-line block ×3, first 2 shown]
	s_wait_dscnt 0x3
	global_store_b128 v[16:17], v[0:3], off
	s_wait_dscnt 0x2
	global_store_b128 v[18:19], v[4:7], off
	;; [unrolled: 2-line block ×4, first 2 shown]
	v_add_nc_u32_e32 v2, 0x15f, v239
	v_add_nc_u32_e32 v10, 0x186, v239
	;; [unrolled: 1-line block ×5, first 2 shown]
	v_mov_b32_e32 v19, v240
	v_mov_b32_e32 v3, v240
	v_lshlrev_b64_e32 v[0:1], 4, v[24:25]
	v_mov_b32_e32 v11, v240
	v_mov_b32_e32 v17, v240
	v_lshlrev_b64_e32 v[32:33], 4, v[18:19]
	v_lshlrev_b64_e32 v[8:9], 4, v[2:3]
	v_add_co_u32 v24, vcc_lo, v36, v0
	s_wait_alu 0xfffd
	v_add_co_ci_u32_e32 v25, vcc_lo, v37, v1, vcc_lo
	s_delay_alu instid0(VALU_DEP_3)
	v_add_co_u32 v26, vcc_lo, v36, v8
	s_wait_alu 0xfffd
	v_add_co_ci_u32_e32 v27, vcc_lo, v37, v9, vcc_lo
	v_lshlrev_b64_e32 v[8:9], 4, v[10:11]
	ds_load_b128 v[0:3], v34 offset:4992
	ds_load_b128 v[4:7], v34 offset:5616
	v_lshlrev_b64_e32 v[30:31], 4, v[16:17]
	v_add_co_u32 v28, vcc_lo, v36, v8
	s_wait_alu 0xfffd
	v_add_co_ci_u32_e32 v29, vcc_lo, v37, v9, vcc_lo
	ds_load_b128 v[8:11], v34 offset:6240
	ds_load_b128 v[12:15], v34 offset:6864
	;; [unrolled: 1-line block ×4, first 2 shown]
	v_add_co_u32 v30, vcc_lo, v36, v30
	v_lshlrev_b64_e32 v[34:35], 4, v[239:240]
	s_wait_alu 0xfffd
	v_add_co_ci_u32_e32 v31, vcc_lo, v37, v31, vcc_lo
	v_add_co_u32 v32, vcc_lo, v36, v32
	s_wait_alu 0xfffd
	v_add_co_ci_u32_e32 v33, vcc_lo, v37, v33, vcc_lo
	v_add_co_u32 v34, vcc_lo, v36, v34
	s_wait_alu 0xfffd
	v_add_co_ci_u32_e32 v35, vcc_lo, v37, v35, vcc_lo
	s_wait_dscnt 0x5
	global_store_b128 v[24:25], v[0:3], off
	s_wait_dscnt 0x4
	global_store_b128 v[26:27], v[4:7], off
	;; [unrolled: 2-line block ×6, first 2 shown]
.LBB0_26:
	s_nop 0
	s_sendmsg sendmsg(MSG_DEALLOC_VGPRS)
	s_endpgm
	.section	.rodata,"a",@progbits
	.p2align	6, 0x0
	.amdhsa_kernel fft_rtc_back_len546_factors_13_3_7_2_wgs_117_tpt_39_halfLds_dp_op_CI_CI_unitstride_sbrr_C2R_dirReg
		.amdhsa_group_segment_fixed_size 0
		.amdhsa_private_segment_fixed_size 564
		.amdhsa_kernarg_size 104
		.amdhsa_user_sgpr_count 2
		.amdhsa_user_sgpr_dispatch_ptr 0
		.amdhsa_user_sgpr_queue_ptr 0
		.amdhsa_user_sgpr_kernarg_segment_ptr 1
		.amdhsa_user_sgpr_dispatch_id 0
		.amdhsa_user_sgpr_private_segment_size 0
		.amdhsa_wavefront_size32 1
		.amdhsa_uses_dynamic_stack 0
		.amdhsa_enable_private_segment 1
		.amdhsa_system_sgpr_workgroup_id_x 1
		.amdhsa_system_sgpr_workgroup_id_y 0
		.amdhsa_system_sgpr_workgroup_id_z 0
		.amdhsa_system_sgpr_workgroup_info 0
		.amdhsa_system_vgpr_workitem_id 0
		.amdhsa_next_free_vgpr 256
		.amdhsa_next_free_sgpr 44
		.amdhsa_reserve_vcc 1
		.amdhsa_float_round_mode_32 0
		.amdhsa_float_round_mode_16_64 0
		.amdhsa_float_denorm_mode_32 3
		.amdhsa_float_denorm_mode_16_64 3
		.amdhsa_fp16_overflow 0
		.amdhsa_workgroup_processor_mode 1
		.amdhsa_memory_ordered 1
		.amdhsa_forward_progress 0
		.amdhsa_round_robin_scheduling 0
		.amdhsa_exception_fp_ieee_invalid_op 0
		.amdhsa_exception_fp_denorm_src 0
		.amdhsa_exception_fp_ieee_div_zero 0
		.amdhsa_exception_fp_ieee_overflow 0
		.amdhsa_exception_fp_ieee_underflow 0
		.amdhsa_exception_fp_ieee_inexact 0
		.amdhsa_exception_int_div_zero 0
	.end_amdhsa_kernel
	.text
.Lfunc_end0:
	.size	fft_rtc_back_len546_factors_13_3_7_2_wgs_117_tpt_39_halfLds_dp_op_CI_CI_unitstride_sbrr_C2R_dirReg, .Lfunc_end0-fft_rtc_back_len546_factors_13_3_7_2_wgs_117_tpt_39_halfLds_dp_op_CI_CI_unitstride_sbrr_C2R_dirReg
                                        ; -- End function
	.section	.AMDGPU.csdata,"",@progbits
; Kernel info:
; codeLenInByte = 16488
; NumSgprs: 46
; NumVgprs: 256
; ScratchSize: 564
; MemoryBound: 0
; FloatMode: 240
; IeeeMode: 1
; LDSByteSize: 0 bytes/workgroup (compile time only)
; SGPRBlocks: 5
; VGPRBlocks: 31
; NumSGPRsForWavesPerEU: 46
; NumVGPRsForWavesPerEU: 256
; Occupancy: 5
; WaveLimiterHint : 1
; COMPUTE_PGM_RSRC2:SCRATCH_EN: 1
; COMPUTE_PGM_RSRC2:USER_SGPR: 2
; COMPUTE_PGM_RSRC2:TRAP_HANDLER: 0
; COMPUTE_PGM_RSRC2:TGID_X_EN: 1
; COMPUTE_PGM_RSRC2:TGID_Y_EN: 0
; COMPUTE_PGM_RSRC2:TGID_Z_EN: 0
; COMPUTE_PGM_RSRC2:TIDIG_COMP_CNT: 0
	.text
	.p2alignl 7, 3214868480
	.fill 96, 4, 3214868480
	.type	__hip_cuid_e0ff35c4ee12b872,@object ; @__hip_cuid_e0ff35c4ee12b872
	.section	.bss,"aw",@nobits
	.globl	__hip_cuid_e0ff35c4ee12b872
__hip_cuid_e0ff35c4ee12b872:
	.byte	0                               ; 0x0
	.size	__hip_cuid_e0ff35c4ee12b872, 1

	.ident	"AMD clang version 19.0.0git (https://github.com/RadeonOpenCompute/llvm-project roc-6.4.0 25133 c7fe45cf4b819c5991fe208aaa96edf142730f1d)"
	.section	".note.GNU-stack","",@progbits
	.addrsig
	.addrsig_sym __hip_cuid_e0ff35c4ee12b872
	.amdgpu_metadata
---
amdhsa.kernels:
  - .args:
      - .actual_access:  read_only
        .address_space:  global
        .offset:         0
        .size:           8
        .value_kind:     global_buffer
      - .offset:         8
        .size:           8
        .value_kind:     by_value
      - .actual_access:  read_only
        .address_space:  global
        .offset:         16
        .size:           8
        .value_kind:     global_buffer
      - .actual_access:  read_only
        .address_space:  global
        .offset:         24
        .size:           8
        .value_kind:     global_buffer
      - .actual_access:  read_only
        .address_space:  global
        .offset:         32
        .size:           8
        .value_kind:     global_buffer
      - .offset:         40
        .size:           8
        .value_kind:     by_value
      - .actual_access:  read_only
        .address_space:  global
        .offset:         48
        .size:           8
        .value_kind:     global_buffer
      - .actual_access:  read_only
        .address_space:  global
        .offset:         56
        .size:           8
        .value_kind:     global_buffer
      - .offset:         64
        .size:           4
        .value_kind:     by_value
      - .actual_access:  read_only
        .address_space:  global
        .offset:         72
        .size:           8
        .value_kind:     global_buffer
      - .actual_access:  read_only
        .address_space:  global
        .offset:         80
        .size:           8
        .value_kind:     global_buffer
      - .actual_access:  read_only
        .address_space:  global
        .offset:         88
        .size:           8
        .value_kind:     global_buffer
      - .actual_access:  write_only
        .address_space:  global
        .offset:         96
        .size:           8
        .value_kind:     global_buffer
    .group_segment_fixed_size: 0
    .kernarg_segment_align: 8
    .kernarg_segment_size: 104
    .language:       OpenCL C
    .language_version:
      - 2
      - 0
    .max_flat_workgroup_size: 117
    .name:           fft_rtc_back_len546_factors_13_3_7_2_wgs_117_tpt_39_halfLds_dp_op_CI_CI_unitstride_sbrr_C2R_dirReg
    .private_segment_fixed_size: 564
    .sgpr_count:     46
    .sgpr_spill_count: 0
    .symbol:         fft_rtc_back_len546_factors_13_3_7_2_wgs_117_tpt_39_halfLds_dp_op_CI_CI_unitstride_sbrr_C2R_dirReg.kd
    .uniform_work_group_size: 1
    .uses_dynamic_stack: false
    .vgpr_count:     256
    .vgpr_spill_count: 148
    .wavefront_size: 32
    .workgroup_processor_mode: 1
amdhsa.target:   amdgcn-amd-amdhsa--gfx1201
amdhsa.version:
  - 1
  - 2
...

	.end_amdgpu_metadata
